;; amdgpu-corpus repo=ROCm/rocFFT kind=compiled arch=gfx1201 opt=O3
	.text
	.amdgcn_target "amdgcn-amd-amdhsa--gfx1201"
	.amdhsa_code_object_version 6
	.protected	bluestein_single_back_len1323_dim1_half_op_CI_CI ; -- Begin function bluestein_single_back_len1323_dim1_half_op_CI_CI
	.globl	bluestein_single_back_len1323_dim1_half_op_CI_CI
	.p2align	8
	.type	bluestein_single_back_len1323_dim1_half_op_CI_CI,@function
bluestein_single_back_len1323_dim1_half_op_CI_CI: ; @bluestein_single_back_len1323_dim1_half_op_CI_CI
; %bb.0:
	s_load_b128 s[8:11], s[0:1], 0x28
	v_mul_u32_u24_e32 v1, 0x15b, v0
	s_mov_b32 s2, exec_lo
	v_mov_b32_e32 v11, 0
	s_delay_alu instid0(VALU_DEP_2) | instskip(NEXT) | instid1(VALU_DEP_1)
	v_lshrrev_b32_e32 v1, 16, v1
	v_add_nc_u32_e32 v10, ttmp9, v1
	s_wait_kmcnt 0x0
	s_delay_alu instid0(VALU_DEP_1)
	v_cmpx_gt_u64_e64 s[8:9], v[10:11]
	s_cbranch_execz .LBB0_31
; %bb.1:
	s_clause 0x1
	s_load_b128 s[4:7], s[0:1], 0x18
	s_load_b64 s[16:17], s[0:1], 0x0
	v_mul_lo_u16 v1, 0xbd, v1
	s_movk_i32 s2, 0xfd4b
	s_mov_b32 s3, -1
	s_delay_alu instid0(VALU_DEP_1) | instskip(NEXT) | instid1(VALU_DEP_1)
	v_sub_nc_u16 v7, v0, v1
	v_and_b32_e32 v40, 0xffff, v7
	s_wait_kmcnt 0x0
	s_load_b128 s[12:15], s[4:5], 0x0
	s_wait_kmcnt 0x0
	v_mad_co_u64_u32 v[0:1], null, s14, v10, 0
	v_mad_co_u64_u32 v[2:3], null, s12, v40, 0
	s_mul_u64 s[4:5], s[12:13], 0x1b9
	s_mul_u64 s[2:3], s[12:13], s[2:3]
	s_delay_alu instid0(SALU_CYCLE_1) | instskip(NEXT) | instid1(VALU_DEP_1)
	s_lshl_b64 s[2:3], s[2:3], 2
	v_mad_co_u64_u32 v[4:5], null, s15, v10, v[1:2]
	s_delay_alu instid0(VALU_DEP_1) | instskip(NEXT) | instid1(VALU_DEP_3)
	v_mov_b32_e32 v1, v4
	v_mad_co_u64_u32 v[5:6], null, s13, v40, v[3:4]
	v_lshlrev_b32_e32 v33, 2, v40
	s_delay_alu instid0(VALU_DEP_3)
	v_lshlrev_b64_e32 v[0:1], 2, v[0:1]
	global_load_b32 v45, v33, s[16:17]
	v_mov_b32_e32 v3, v5
	s_clause 0x2
	global_load_b32 v34, v33, s[16:17] offset:4284
	global_load_b32 v41, v33, s[16:17] offset:3528
	;; [unrolled: 1-line block ×3, first 2 shown]
	v_add_co_u32 v0, vcc_lo, s10, v0
	v_add_co_ci_u32_e32 v1, vcc_lo, s11, v1, vcc_lo
	v_lshlrev_b64_e32 v[2:3], 2, v[2:3]
	s_lshl_b64 s[10:11], s[4:5], 2
	s_clause 0x1
	global_load_b32 v43, v33, s[16:17] offset:1764
	global_load_b32 v38, v33, s[16:17] offset:756
	v_add_co_u32 v8, s12, s16, v33
	s_wait_alu 0xf1ff
	v_add_co_ci_u32_e64 v9, null, s17, 0, s12
	v_add_co_u32 v0, vcc_lo, v0, v2
	s_wait_alu 0xfffd
	v_add_co_ci_u32_e32 v1, vcc_lo, v1, v3, vcc_lo
	s_wait_alu 0xfffe
	s_delay_alu instid0(VALU_DEP_2) | instskip(SKIP_1) | instid1(VALU_DEP_2)
	v_add_co_u32 v2, vcc_lo, v0, s10
	s_wait_alu 0xfffd
	v_add_co_ci_u32_e32 v3, vcc_lo, s11, v1, vcc_lo
	s_clause 0x1
	global_load_b32 v6, v[0:1], off
	global_load_b32 v11, v[2:3], off
	v_add_co_u32 v0, vcc_lo, v2, s10
	s_wait_alu 0xfffd
	v_add_co_ci_u32_e32 v1, vcc_lo, s11, v3, vcc_lo
	s_delay_alu instid0(VALU_DEP_2) | instskip(SKIP_1) | instid1(VALU_DEP_2)
	v_add_co_u32 v2, vcc_lo, v0, s2
	s_wait_alu 0xfffd
	v_add_co_ci_u32_e32 v3, vcc_lo, s3, v1, vcc_lo
	global_load_b32 v12, v[0:1], off
	v_add_co_u32 v4, vcc_lo, v2, s10
	global_load_b32 v2, v[2:3], off
	s_wait_alu 0xfffd
	v_add_co_ci_u32_e32 v5, vcc_lo, s11, v3, vcc_lo
	v_add_co_u32 v0, vcc_lo, v4, s10
	s_wait_alu 0xfffd
	s_delay_alu instid0(VALU_DEP_2)
	v_add_co_ci_u32_e32 v1, vcc_lo, s11, v5, vcc_lo
	global_load_b32 v3, v[4:5], off
	global_load_b32 v4, v[0:1], off
	s_load_b64 s[8:9], s[0:1], 0x38
	s_load_b128 s[4:7], s[6:7], 0x0
	v_cmp_gt_u16_e32 vcc_lo, 63, v7
	s_wait_loadcnt 0xa
	v_lshrrev_b32_e32 v35, 16, v34
	v_lshrrev_b32_e32 v46, 16, v45
	s_wait_loadcnt 0x9
	v_lshrrev_b32_e32 v42, 16, v41
	s_wait_loadcnt 0x8
	;; [unrolled: 2-line block ×5, first 2 shown]
	v_lshrrev_b32_e32 v5, 16, v6
	v_mul_f16_e32 v13, v46, v6
	s_wait_loadcnt 0x4
	v_lshrrev_b32_e32 v15, 16, v11
	v_mul_f16_e32 v16, v44, v11
	v_mul_f16_e32 v14, v46, v5
	v_fma_f16 v5, v45, v5, -v13
	s_delay_alu instid0(VALU_DEP_4) | instskip(NEXT) | instid1(VALU_DEP_4)
	v_mul_f16_e32 v13, v44, v15
	v_fma_f16 v15, v43, v15, -v16
	s_delay_alu instid0(VALU_DEP_4) | instskip(SKIP_3) | instid1(VALU_DEP_3)
	v_fmac_f16_e32 v14, v45, v6
	s_wait_loadcnt 0x3
	v_lshrrev_b32_e32 v6, 16, v12
	v_mul_f16_e32 v16, v42, v12
	v_pack_b32_f16 v5, v14, v5
	v_fmac_f16_e32 v13, v43, v11
	s_wait_loadcnt 0x2
	v_lshrrev_b32_e32 v11, 16, v2
	v_mul_f16_e32 v14, v42, v6
	v_fma_f16 v6, v41, v6, -v16
	v_mul_f16_e32 v16, v39, v2
	s_delay_alu instid0(VALU_DEP_4) | instskip(NEXT) | instid1(VALU_DEP_4)
	v_mul_f16_e32 v17, v39, v11
	v_fmac_f16_e32 v14, v41, v12
	s_wait_loadcnt 0x1
	v_lshrrev_b32_e32 v12, 16, v3
	s_wait_loadcnt 0x0
	v_lshrrev_b32_e32 v18, 16, v4
	v_fma_f16 v11, v38, v11, -v16
	v_mul_f16_e32 v16, v37, v3
	v_mul_f16_e32 v20, v35, v4
	;; [unrolled: 1-line block ×4, first 2 shown]
	v_fmac_f16_e32 v17, v38, v2
	v_fma_f16 v2, v36, v12, -v16
	v_pack_b32_f16 v6, v14, v6
	v_fmac_f16_e32 v19, v36, v3
	v_fma_f16 v3, v34, v18, -v20
	v_fmac_f16_e32 v21, v34, v4
	v_pack_b32_f16 v4, v13, v15
	v_pack_b32_f16 v11, v17, v11
	;; [unrolled: 1-line block ×3, first 2 shown]
	s_delay_alu instid0(VALU_DEP_4)
	v_pack_b32_f16 v3, v21, v3
	ds_store_b32 v33, v4 offset:1764
	ds_store_b32 v33, v6 offset:3528
	ds_store_2addr_b32 v33, v5, v11 offset1:189
	ds_store_b32 v33, v2 offset:2520
	ds_store_b32 v33, v3 offset:4284
	s_and_saveexec_b32 s12, vcc_lo
	s_cbranch_execz .LBB0_3
; %bb.2:
	v_add_co_u32 v0, s2, v0, s2
	s_wait_alu 0xf1ff
	v_add_co_ci_u32_e64 v1, s2, s3, v1, s2
	global_load_b32 v6, v[8:9], off offset:1512
	v_add_co_u32 v2, s2, v0, s10
	s_wait_alu 0xf1ff
	v_add_co_ci_u32_e64 v3, s2, s11, v1, s2
	s_delay_alu instid0(VALU_DEP_2) | instskip(SKIP_1) | instid1(VALU_DEP_2)
	v_add_co_u32 v4, s2, v2, s10
	s_wait_alu 0xf1ff
	v_add_co_ci_u32_e64 v5, s2, s11, v3, s2
	global_load_b32 v7, v[8:9], off offset:3276
	global_load_b32 v0, v[0:1], off
	global_load_b32 v1, v[8:9], off offset:5040
	global_load_b32 v2, v[2:3], off
	global_load_b32 v3, v[4:5], off
	s_wait_loadcnt 0x5
	v_lshrrev_b32_e32 v4, 16, v6
	s_wait_loadcnt 0x4
	v_lshrrev_b32_e32 v5, 16, v7
	;; [unrolled: 2-line block ×3, first 2 shown]
	v_mul_f16_e32 v12, v4, v0
	s_wait_loadcnt 0x1
	v_lshrrev_b32_e32 v14, 16, v2
	v_lshrrev_b32_e32 v13, 16, v1
	s_wait_loadcnt 0x0
	v_lshrrev_b32_e32 v15, 16, v3
	v_mul_f16_e32 v4, v4, v11
	v_fma_f16 v11, v6, v11, -v12
	v_mul_f16_e32 v12, v5, v2
	v_mul_f16_e32 v5, v5, v14
	;; [unrolled: 1-line block ×4, first 2 shown]
	v_fmac_f16_e32 v4, v6, v0
	v_fma_f16 v0, v7, v14, -v12
	v_fmac_f16_e32 v5, v7, v2
	v_fmac_f16_e32 v16, v1, v3
	v_fma_f16 v1, v1, v15, -v13
	v_pack_b32_f16 v2, v4, v11
	s_delay_alu instid0(VALU_DEP_4) | instskip(NEXT) | instid1(VALU_DEP_3)
	v_pack_b32_f16 v0, v5, v0
	v_pack_b32_f16 v1, v16, v1
	ds_store_b32 v33, v2 offset:1512
	ds_store_b32 v33, v0 offset:3276
	;; [unrolled: 1-line block ×3, first 2 shown]
.LBB0_3:
	s_wait_alu 0xfffe
	s_or_b32 exec_lo, exec_lo, s12
	v_add_nc_u32_e32 v0, 0x600, v33
	v_add_nc_u32_e32 v1, 0xd00, v33
	global_wb scope:SCOPE_SE
	s_wait_dscnt 0x0
	s_wait_kmcnt 0x0
	s_barrier_signal -1
	s_barrier_wait -1
	global_inv scope:SCOPE_SE
	ds_load_2addr_b32 v[2:3], v33 offset1:189
	ds_load_2addr_b32 v[4:5], v0 offset0:57 offset1:246
	ds_load_2addr_b32 v[0:1], v1 offset0:50 offset1:239
                                        ; implicit-def: $vgpr11
                                        ; implicit-def: $vgpr12
                                        ; implicit-def: $vgpr6
	s_and_saveexec_b32 s2, vcc_lo
	s_cbranch_execz .LBB0_5
; %bb.4:
	ds_load_b32 v11, v33 offset:1512
	ds_load_b32 v12, v33 offset:3276
	ds_load_b32 v6, v33 offset:5040
.LBB0_5:
	s_wait_alu 0xfffe
	s_or_b32 exec_lo, exec_lo, s2
	s_wait_dscnt 0x0
	v_pk_add_f16 v13, v12, v6
	v_pk_add_f16 v14, v12, v6 neg_lo:[0,1] neg_hi:[0,1]
	v_pk_add_f16 v12, v11, v12
	v_add_co_u32 v7, s2, 0xbd, v40
	s_delay_alu instid0(VALU_DEP_4) | instskip(NEXT) | instid1(VALU_DEP_4)
	v_pk_fma_f16 v11, v13, 0.5, v11 op_sel_hi:[1,0,1] neg_lo:[1,0,0] neg_hi:[1,0,0]
	v_pk_mul_f16 v13, 0x3aee, v14 op_sel_hi:[0,1]
	s_load_b64 s[0:1], s[0:1], 0x8
	v_pk_add_f16 v14, v2, v4
	v_pk_add_f16 v18, v12, v6
	v_mul_lo_u16 v6, v40, 3
	v_pk_add_f16 v21, v11, v13 op_sel:[0,1] op_sel_hi:[1,0] neg_lo:[0,1] neg_hi:[0,1]
	v_pk_add_f16 v22, v11, v13 op_sel:[0,1] op_sel_hi:[1,0]
	v_pk_add_f16 v11, v4, v0
	v_pk_add_f16 v4, v4, v0 neg_lo:[0,1] neg_hi:[0,1]
	v_add_co_ci_u32_e64 v15, null, 0, 0, s2
	v_pk_add_f16 v15, v3, v5
	s_delay_alu instid0(VALU_DEP_4)
	v_pk_fma_f16 v2, v11, 0.5, v2 op_sel_hi:[1,0,1] neg_lo:[1,0,0] neg_hi:[1,0,0]
	v_pk_add_f16 v11, v5, v1
	v_pk_add_f16 v5, v5, v1 neg_lo:[0,1] neg_hi:[0,1]
	v_and_b32_e32 v6, 0xffff, v6
	v_pk_mul_f16 v4, 0x3aee, v4 op_sel_hi:[0,1]
	v_add_co_u32 v17, null, 0x17a, v40
	v_pk_fma_f16 v3, v11, 0.5, v3 op_sel_hi:[1,0,1] neg_lo:[1,0,0] neg_hi:[1,0,0]
	v_pk_mul_f16 v5, 0x3aee, v5 op_sel_hi:[0,1]
	v_lshlrev_b32_e32 v47, 2, v6
	v_pk_add_f16 v6, v2, v4 op_sel:[0,1] op_sel_hi:[1,0]
	v_pk_add_f16 v2, v2, v4 op_sel:[0,1] op_sel_hi:[1,0] neg_lo:[0,1] neg_hi:[0,1]
	v_mul_u32_u24_e32 v4, 3, v7
	v_pk_add_f16 v11, v3, v5 op_sel:[0,1] op_sel_hi:[1,0]
	v_pk_add_f16 v3, v3, v5 op_sel:[0,1] op_sel_hi:[1,0] neg_lo:[0,1] neg_hi:[0,1]
	v_pk_add_f16 v0, v14, v0
	v_bfi_b32 v5, 0xffff, v6, v2
	v_lshlrev_b32_e32 v49, 2, v4
	v_mul_u32_u24_e32 v48, 3, v17
	v_bfi_b32 v2, 0xffff, v2, v6
	v_pk_add_f16 v1, v15, v1
	v_bfi_b32 v4, 0xffff, v11, v3
	v_bfi_b32 v3, 0xffff, v3, v11
	global_wb scope:SCOPE_SE
	s_wait_kmcnt 0x0
	s_barrier_signal -1
	s_barrier_wait -1
	global_inv scope:SCOPE_SE
	ds_store_2addr_b32 v47, v0, v5 offset1:1
	ds_store_b32 v47, v2 offset:8
	ds_store_2addr_b32 v49, v1, v4 offset1:1
	ds_store_b32 v49, v3 offset:8
	s_and_saveexec_b32 s2, vcc_lo
	s_cbranch_execz .LBB0_7
; %bb.6:
	v_lshlrev_b32_e32 v0, 2, v48
	v_bfi_b32 v1, 0xffff, v21, v22
	v_bfi_b32 v2, 0xffff, v22, v21
	ds_store_b32 v0, v18
	ds_store_2addr_b32 v0, v2, v1 offset0:1 offset1:2
.LBB0_7:
	s_wait_alu 0xfffe
	s_or_b32 exec_lo, exec_lo, s2
	v_add_nc_u32_e32 v2, 0x600, v33
	v_add_nc_u32_e32 v3, 0xd00, v33
	global_wb scope:SCOPE_SE
	s_wait_dscnt 0x0
	s_barrier_signal -1
	s_barrier_wait -1
	global_inv scope:SCOPE_SE
	ds_load_2addr_b32 v[0:1], v33 offset1:189
	ds_load_2addr_b32 v[4:5], v2 offset0:57 offset1:246
	ds_load_2addr_b32 v[2:3], v3 offset0:50 offset1:239
	v_lshrrev_b32_e32 v24, 16, v21
	s_and_saveexec_b32 s2, vcc_lo
	s_cbranch_execz .LBB0_9
; %bb.8:
	ds_load_b32 v6, v33 offset:3276
	ds_load_b32 v21, v33 offset:5040
	;; [unrolled: 1-line block ×3, first 2 shown]
	s_wait_dscnt 0x2
	v_lshrrev_b32_e32 v24, 16, v6
	s_wait_dscnt 0x1
	v_bfi_b32 v22, 0xffff, v6, v21
.LBB0_9:
	s_wait_alu 0xfffe
	s_or_b32 exec_lo, exec_lo, s2
	v_and_b32_e32 v6, 0xff, v40
	v_and_b32_e32 v20, 0xffff, v7
	;; [unrolled: 1-line block ×3, first 2 shown]
	s_wait_dscnt 0x1
	v_lshrrev_b32_e32 v31, 16, v4
	s_wait_dscnt 0x0
	v_lshrrev_b32_e32 v32, 16, v2
	v_mul_lo_u16 v11, 0xab, v6
	v_mul_u32_u24_e32 v12, 0xaaab, v20
	v_lshrrev_b32_e32 v59, 16, v3
	v_lshrrev_b32_e32 v61, 16, v22
	;; [unrolled: 1-line block ×3, first 2 shown]
	v_lshrrev_b16 v23, 9, v11
	v_mul_u32_u24_e32 v11, 0xaaab, v19
	v_lshrrev_b32_e32 v25, 17, v12
	v_lshrrev_b32_e32 v53, 16, v1
	s_delay_alu instid0(VALU_DEP_4) | instskip(NEXT) | instid1(VALU_DEP_4)
	v_mul_lo_u16 v12, v23, 3
	v_lshrrev_b32_e32 v26, 17, v11
	s_delay_alu instid0(VALU_DEP_4) | instskip(SKIP_1) | instid1(VALU_DEP_4)
	v_mul_lo_u16 v11, v25, 3
	v_and_b32_e32 v23, 0xffff, v23
	v_sub_nc_u16 v12, v40, v12
	s_delay_alu instid0(VALU_DEP_4) | instskip(NEXT) | instid1(VALU_DEP_4)
	v_mul_lo_u16 v13, v26, 3
	v_sub_nc_u16 v27, v7, v11
	s_delay_alu instid0(VALU_DEP_4)
	v_mul_u32_u24_e32 v51, 9, v23
	v_lshrrev_b32_e32 v23, 16, v18
	v_and_b32_e32 v28, 0xff, v12
	v_sub_nc_u16 v29, v17, v13
	v_lshlrev_b16 v11, 1, v27
	v_mad_u16 v25, v25, 9, v27
	v_lshrrev_b32_e32 v27, 16, v5
	v_lshlrev_b32_e32 v12, 3, v28
	v_lshlrev_b16 v13, 1, v29
	v_and_b32_e32 v11, 0xffff, v11
	v_and_b32_e32 v25, 0xffff, v25
	v_mad_u16 v50, v26, 9, v29
	global_load_b64 v[15:16], v12, s[0:1]
	v_and_b32_e32 v12, 0xffff, v13
	v_lshlrev_b32_e32 v11, 2, v11
	v_add_lshl_u32 v52, v51, v28, 2
	v_lshlrev_b32_e32 v51, 2, v25
	s_delay_alu instid0(VALU_DEP_4)
	v_lshlrev_b32_e32 v12, 2, v12
	s_clause 0x1
	global_load_b64 v[13:14], v11, s[0:1]
	global_load_b64 v[11:12], v12, s[0:1]
	global_wb scope:SCOPE_SE
	s_wait_loadcnt 0x0
	s_barrier_signal -1
	s_barrier_wait -1
	global_inv scope:SCOPE_SE
	v_lshrrev_b32_e32 v60, 16, v15
	v_lshrrev_b32_e32 v58, 16, v16
	s_delay_alu instid0(VALU_DEP_2) | instskip(SKIP_1) | instid1(VALU_DEP_3)
	v_mul_f16_e32 v25, v31, v60
	v_mul_f16_e32 v26, v4, v60
	;; [unrolled: 1-line block ×4, first 2 shown]
	v_lshrrev_b32_e32 v57, 16, v13
	v_lshrrev_b32_e32 v56, 16, v14
	;; [unrolled: 1-line block ×4, first 2 shown]
	v_fma_f16 v4, v4, v15, -v25
	v_fmac_f16_e32 v26, v31, v15
	v_fma_f16 v2, v2, v16, -v28
	v_fmac_f16_e32 v29, v32, v16
	v_mul_f16_e32 v25, v27, v57
	v_mul_f16_e32 v28, v5, v57
	;; [unrolled: 1-line block ×8, first 2 shown]
	v_fma_f16 v5, v5, v13, -v25
	v_fmac_f16_e32 v28, v27, v13
	v_fma_f16 v3, v3, v14, -v31
	v_fmac_f16_e32 v32, v59, v14
	v_add_f16_e32 v25, v4, v2
	v_sub_f16_e32 v27, v26, v29
	v_add_f16_e32 v31, v30, v26
	v_add_f16_e32 v26, v26, v29
	v_fma_f16 v22, v22, v11, -v62
	v_fmac_f16_e32 v63, v24, v11
	v_fma_f16 v21, v21, v12, -v64
	v_fmac_f16_e32 v65, v61, v12
	v_add_f16_e32 v24, v0, v4
	v_fma_f16 v0, -0.5, v25, v0
	v_add_f16_e32 v29, v31, v29
	v_fmac_f16_e32 v30, -0.5, v26
	v_add_f16_e32 v25, v5, v3
	v_sub_f16_e32 v31, v28, v32
	v_add_f16_e32 v26, v53, v28
	v_add_f16_e32 v28, v28, v32
	v_sub_f16_e32 v4, v4, v2
	v_add_f16_e32 v61, v22, v21
	v_sub_f16_e32 v62, v63, v65
	v_add_f16_e32 v64, v23, v63
	v_add_f16_e32 v63, v63, v65
	;; [unrolled: 1-line block ×4, first 2 shown]
	v_sub_f16_e32 v5, v5, v3
	v_add_f16_e32 v59, v18, v22
	v_fmac_f16_e32 v1, -0.5, v25
	v_fmac_f16_e32 v53, -0.5, v28
	v_sub_f16_e32 v22, v22, v21
	v_fmamk_f16 v66, v27, 0x3aee, v0
	v_fmamk_f16 v67, v4, 0xbaee, v30
	v_fmac_f16_e32 v30, 0x3aee, v4
	v_add_f16_e32 v4, v26, v32
	v_fma_f16 v26, -0.5, v61, v18
	v_fmac_f16_e32 v23, -0.5, v63
	v_fmac_f16_e32 v0, 0xbaee, v27
	v_add_f16_e32 v3, v24, v3
	v_add_f16_e32 v24, v59, v21
	v_fmamk_f16 v18, v31, 0x3aee, v1
	v_fmamk_f16 v21, v5, 0xbaee, v53
	v_fmac_f16_e32 v1, 0xbaee, v31
	v_fmac_f16_e32 v53, 0x3aee, v5
	v_add_f16_e32 v25, v64, v65
	v_pack_b32_f16 v2, v2, v29
	v_fmamk_f16 v27, v62, 0x3aee, v26
	v_fmac_f16_e32 v26, 0xbaee, v62
	v_fmamk_f16 v28, v22, 0xbaee, v23
	v_pack_b32_f16 v5, v66, v67
	v_fmac_f16_e32 v23, 0x3aee, v22
	v_pack_b32_f16 v0, v0, v30
	v_pack_b32_f16 v3, v3, v4
	;; [unrolled: 1-line block ×4, first 2 shown]
	ds_store_2addr_b32 v52, v2, v5 offset1:3
	ds_store_b32 v52, v0 offset:24
	ds_store_2addr_b32 v51, v3, v4 offset1:3
	ds_store_b32 v51, v1 offset:24
	s_and_saveexec_b32 s2, vcc_lo
	s_cbranch_execz .LBB0_11
; %bb.10:
	v_and_b32_e32 v0, 0xffff, v50
	v_perm_b32 v1, v25, v24, 0x5040100
	v_perm_b32 v2, v28, v27, 0x5040100
	;; [unrolled: 1-line block ×3, first 2 shown]
	s_delay_alu instid0(VALU_DEP_4)
	v_lshlrev_b32_e32 v0, 2, v0
	ds_store_2addr_b32 v0, v1, v2 offset1:3
	ds_store_b32 v0, v3 offset:24
.LBB0_11:
	s_wait_alu 0xfffe
	s_or_b32 exec_lo, exec_lo, s2
	v_add_nc_u32_e32 v2, 0x600, v33
	v_add_nc_u32_e32 v3, 0xd00, v33
	global_wb scope:SCOPE_SE
	s_wait_dscnt 0x0
	s_barrier_signal -1
	s_barrier_wait -1
	global_inv scope:SCOPE_SE
	ds_load_2addr_b32 v[0:1], v33 offset1:189
	ds_load_2addr_b32 v[4:5], v2 offset0:57 offset1:246
	ds_load_2addr_b32 v[2:3], v3 offset0:50 offset1:239
	s_and_saveexec_b32 s2, vcc_lo
	s_cbranch_execz .LBB0_13
; %bb.12:
	ds_load_b32 v24, v33 offset:1512
	ds_load_b32 v27, v33 offset:3276
	;; [unrolled: 1-line block ×3, first 2 shown]
	s_wait_dscnt 0x2
	v_lshrrev_b32_e32 v25, 16, v24
	s_wait_dscnt 0x1
	v_lshrrev_b32_e32 v28, 16, v27
	;; [unrolled: 2-line block ×3, first 2 shown]
.LBB0_13:
	s_wait_alu 0xfffe
	s_or_b32 exec_lo, exec_lo, s2
	v_mul_u32_u24_e32 v20, 0xe38f, v20
	v_mul_lo_u16 v18, v6, 57
	v_mul_u32_u24_e32 v19, 0xe38f, v19
	s_wait_dscnt 0x1
	v_lshrrev_b32_e32 v69, 16, v5
	s_wait_dscnt 0x0
	v_lshrrev_b32_e32 v70, 16, v3
	v_lshrrev_b32_e32 v32, 19, v20
	v_lshrrev_b16 v31, 9, v18
	v_lshrrev_b32_e32 v53, 19, v19
	v_lshrrev_b32_e32 v64, 16, v1
	s_delay_alu instid0(VALU_DEP_4) | instskip(NEXT) | instid1(VALU_DEP_4)
	v_mul_lo_u16 v19, v32, 9
	v_mul_lo_u16 v18, v31, 9
	s_delay_alu instid0(VALU_DEP_4) | instskip(NEXT) | instid1(VALU_DEP_3)
	v_mul_lo_u16 v20, v53, 9
	v_sub_nc_u16 v7, v7, v19
	s_delay_alu instid0(VALU_DEP_3) | instskip(NEXT) | instid1(VALU_DEP_3)
	v_sub_nc_u16 v18, v40, v18
	v_sub_nc_u16 v59, v17, v20
	s_delay_alu instid0(VALU_DEP_3) | instskip(NEXT) | instid1(VALU_DEP_3)
	v_lshlrev_b16 v17, 3, v7
	v_and_b32_e32 v61, 0xff, v18
	s_delay_alu instid0(VALU_DEP_3)
	v_lshlrev_b16 v18, 3, v59
	v_mad_u16 v7, v32, 27, v7
	v_lshrrev_b32_e32 v32, 16, v2
	v_and_b32_e32 v17, 0xffff, v17
	v_lshlrev_b32_e32 v19, 3, v61
	v_and_b32_e32 v20, 0xffff, v18
	v_and_b32_e32 v7, 0xffff, v7
	v_mad_u16 v53, v53, 27, v59
	v_add_co_u32 v17, s2, s0, v17
	s_wait_alu 0xf1ff
	v_add_co_ci_u32_e64 v18, null, s1, 0, s2
	v_add_co_u32 v29, s2, s0, v20
	global_load_b64 v[21:22], v19, s[0:1] offset:24
	s_wait_alu 0xf1ff
	v_add_co_ci_u32_e64 v30, null, s1, 0, s2
	s_clause 0x1
	global_load_b64 v[19:20], v[17:18], off offset:24
	global_load_b64 v[17:18], v[29:30], off offset:24
	v_and_b32_e32 v30, 0xffff, v31
	v_lshrrev_b32_e32 v31, 16, v4
	v_lshrrev_b32_e32 v29, 16, v0
	global_wb scope:SCOPE_SE
	s_wait_loadcnt 0x0
	s_barrier_signal -1
	v_mul_u32_u24_e32 v30, 27, v30
	s_barrier_wait -1
	global_inv scope:SCOPE_SE
	v_add_lshl_u32 v63, v30, v61, 2
	v_lshlrev_b32_e32 v61, 2, v7
	v_lshrrev_b32_e32 v68, 16, v21
	v_lshrrev_b32_e32 v67, 16, v22
	;; [unrolled: 1-line block ×3, first 2 shown]
	s_delay_alu instid0(VALU_DEP_3) | instskip(SKIP_1) | instid1(VALU_DEP_4)
	v_mul_f16_e32 v7, v31, v68
	v_mul_f16_e32 v30, v4, v68
	;; [unrolled: 1-line block ×4, first 2 shown]
	v_lshrrev_b32_e32 v65, 16, v20
	v_lshrrev_b32_e32 v62, 16, v17
	;; [unrolled: 1-line block ×3, first 2 shown]
	v_fma_f16 v7, v4, v21, -v7
	v_fmac_f16_e32 v30, v31, v21
	v_fma_f16 v31, v2, v22, -v71
	v_fmac_f16_e32 v72, v32, v22
	v_mul_f16_e32 v32, v69, v66
	v_mul_f16_e32 v71, v5, v66
	v_mul_f16_e32 v73, v70, v65
	v_mul_f16_e32 v74, v3, v65
	v_mul_f16_e32 v75, v28, v62
	v_mul_f16_e32 v4, v27, v62
	v_mul_f16_e32 v2, v26, v59
	v_mul_f16_e32 v76, v23, v59
	v_fma_f16 v32, v5, v19, -v32
	v_fmac_f16_e32 v71, v69, v19
	v_fma_f16 v69, v3, v20, -v73
	v_fmac_f16_e32 v74, v70, v20
	;; [unrolled: 2-line block ×3, first 2 shown]
	v_fmac_f16_e32 v2, v23, v18
	v_add_f16_e32 v23, v0, v7
	v_sub_f16_e32 v27, v30, v72
	v_add_f16_e32 v28, v29, v30
	v_add_f16_e32 v30, v30, v72
	v_fma_f16 v3, v26, v18, -v76
	v_add_f16_e32 v26, v7, v31
	v_sub_f16_e32 v7, v7, v31
	v_add_f16_e32 v23, v23, v31
	v_fmac_f16_e32 v29, -0.5, v30
	v_add_f16_e32 v30, v32, v69
	v_sub_f16_e32 v31, v71, v74
	v_add_f16_e32 v70, v64, v71
	v_add_f16_e32 v71, v71, v74
	v_fma_f16 v0, -0.5, v26, v0
	v_add_f16_e32 v26, v28, v72
	v_add_f16_e32 v72, v5, v3
	;; [unrolled: 1-line block ×4, first 2 shown]
	v_sub_f16_e32 v32, v32, v69
	v_fmac_f16_e32 v1, -0.5, v30
	v_fmac_f16_e32 v64, -0.5, v71
	v_sub_f16_e32 v73, v4, v2
	v_sub_f16_e32 v76, v5, v3
	v_fmamk_f16 v77, v27, 0x3aee, v0
	v_fmac_f16_e32 v0, 0xbaee, v27
	v_fmamk_f16 v27, v7, 0xbaee, v29
	v_fma_f16 v81, -0.5, v72, v24
	v_fma_f16 v82, -0.5, v75, v25
	v_fmac_f16_e32 v29, 0x3aee, v7
	v_add_f16_e32 v7, v28, v69
	v_add_f16_e32 v28, v70, v74
	v_pack_b32_f16 v23, v23, v26
	v_fmamk_f16 v26, v31, 0x3aee, v1
	v_fmamk_f16 v30, v32, 0xbaee, v64
	v_fmac_f16_e32 v1, 0xbaee, v31
	v_fmac_f16_e32 v64, 0x3aee, v32
	v_fmamk_f16 v83, v73, 0x3aee, v81
	v_fmac_f16_e32 v81, 0xbaee, v73
	v_fmamk_f16 v84, v76, 0xbaee, v82
	v_pack_b32_f16 v27, v77, v27
	v_fmac_f16_e32 v82, 0x3aee, v76
	v_pack_b32_f16 v0, v0, v29
	v_pack_b32_f16 v7, v7, v28
	;; [unrolled: 1-line block ×4, first 2 shown]
	ds_store_2addr_b32 v63, v23, v27 offset1:9
	ds_store_b32 v63, v0 offset:72
	ds_store_2addr_b32 v61, v7, v26 offset1:9
	ds_store_b32 v61, v1 offset:72
	s_and_saveexec_b32 s2, vcc_lo
	s_cbranch_execz .LBB0_15
; %bb.14:
	v_add_f16_e32 v0, v25, v4
	v_add_f16_e32 v1, v24, v5
	v_and_b32_e32 v4, 0xffff, v53
	s_delay_alu instid0(VALU_DEP_3) | instskip(NEXT) | instid1(VALU_DEP_3)
	v_add_f16_e32 v0, v0, v2
	v_add_f16_e32 v1, v1, v3
	v_perm_b32 v2, v84, v83, 0x5040100
	s_delay_alu instid0(VALU_DEP_4) | instskip(NEXT) | instid1(VALU_DEP_3)
	v_lshlrev_b32_e32 v3, 2, v4
	v_pack_b32_f16 v0, v1, v0
	v_perm_b32 v1, v82, v81, 0x5040100
	ds_store_2addr_b32 v3, v0, v2 offset1:9
	ds_store_b32 v3, v1 offset:72
.LBB0_15:
	s_wait_alu 0xfffe
	s_or_b32 exec_lo, exec_lo, s2
	v_mul_lo_u16 v0, v6, 19
	global_wb scope:SCOPE_SE
	s_wait_dscnt 0x0
	s_barrier_signal -1
	s_barrier_wait -1
	global_inv scope:SCOPE_SE
	v_lshrrev_b16 v27, 9, v0
	v_add_nc_u32_e32 v87, 0x500, v33
	v_add_nc_u32_e32 v88, 0xb00, v33
	s_delay_alu instid0(VALU_DEP_3) | instskip(SKIP_2) | instid1(VALU_DEP_3)
	v_mul_lo_u16 v0, v27, 27
	v_and_b32_e32 v31, 0xffff, v27
	v_mad_co_u64_u32 v[27:28], null, v40, 24, s[0:1]
	v_sub_nc_u16 v0, v40, v0
	s_delay_alu instid0(VALU_DEP_3) | instskip(NEXT) | instid1(VALU_DEP_2)
	v_mul_u32_u24_e32 v31, 0xbd, v31
	v_and_b32_e32 v29, 0xff, v0
	s_delay_alu instid0(VALU_DEP_1) | instskip(NEXT) | instid1(VALU_DEP_3)
	v_mad_co_u64_u32 v[4:5], null, v29, 24, s[0:1]
	v_add_lshl_u32 v64, v31, v29, 2
	s_add_nc_u64 s[0:1], s[16:17], 0x14ac
	s_clause 0x1
	global_load_b128 v[0:3], v[4:5], off offset:96
	global_load_b64 v[23:24], v[4:5], off offset:112
	ds_load_2addr_b32 v[4:5], v33 offset1:189
	ds_load_b32 v30, v33 offset:4536
	ds_load_2addr_b32 v[6:7], v87 offset0:58 offset1:247
	ds_load_2addr_b32 v[25:26], v88 offset0:52 offset1:241
	global_wb scope:SCOPE_SE
	s_wait_loadcnt_dscnt 0x0
	s_barrier_signal -1
	s_barrier_wait -1
	global_inv scope:SCOPE_SE
	v_lshrrev_b32_e32 v70, 16, v30
	v_lshrrev_b32_e32 v69, 16, v5
	;; [unrolled: 1-line block ×13, first 2 shown]
	v_mul_f16_e32 v29, v69, v78
	v_mul_f16_e32 v31, v5, v78
	;; [unrolled: 1-line block ×12, first 2 shown]
	v_fma_f16 v5, v5, v0, -v29
	v_fmac_f16_e32 v31, v69, v0
	v_fma_f16 v6, v6, v1, -v85
	v_fmac_f16_e32 v86, v71, v1
	;; [unrolled: 2-line block ×6, first 2 shown]
	v_add_f16_e32 v30, v5, v29
	v_add_f16_e32 v69, v31, v96
	v_sub_f16_e32 v5, v5, v29
	v_sub_f16_e32 v29, v31, v96
	v_add_f16_e32 v31, v6, v26
	v_add_f16_e32 v70, v86, v94
	v_sub_f16_e32 v6, v6, v26
	v_sub_f16_e32 v26, v86, v94
	;; [unrolled: 4-line block ×4, first 2 shown]
	v_sub_f16_e32 v30, v30, v71
	v_sub_f16_e32 v69, v69, v77
	;; [unrolled: 1-line block ×4, first 2 shown]
	v_add_f16_e32 v89, v7, v6
	v_add_f16_e32 v90, v25, v26
	v_sub_f16_e32 v91, v7, v6
	v_sub_f16_e32 v92, v25, v26
	;; [unrolled: 1-line block ×4, first 2 shown]
	v_add_f16_e32 v71, v71, v79
	v_add_f16_e32 v77, v77, v80
	v_sub_f16_e32 v7, v5, v7
	v_sub_f16_e32 v25, v29, v25
	v_add_f16_e32 v5, v89, v5
	v_add_f16_e32 v29, v90, v29
	v_mul_f16_e32 v30, 0x3a52, v30
	v_mul_f16_e32 v69, 0x3a52, v69
	;; [unrolled: 1-line block ×8, first 2 shown]
	v_add_f16_e32 v4, v4, v71
	v_add_f16_e32 v32, v32, v77
	v_fmamk_f16 v31, v31, 0x2b26, v30
	v_fmamk_f16 v70, v70, 0x2b26, v69
	v_fma_f16 v79, v85, 0x39e0, -v79
	v_fma_f16 v80, v86, 0x39e0, -v80
	;; [unrolled: 1-line block ×4, first 2 shown]
	v_fmamk_f16 v85, v7, 0x3574, v89
	v_fmamk_f16 v86, v25, 0x3574, v90
	v_fma_f16 v6, v6, 0x3b00, -v89
	v_fma_f16 v26, v26, 0x3b00, -v90
	;; [unrolled: 1-line block ×4, first 2 shown]
	v_fmamk_f16 v71, v71, 0xbcab, v4
	v_fmamk_f16 v77, v77, 0xbcab, v32
	v_fmac_f16_e32 v85, 0x370e, v5
	v_fmac_f16_e32 v86, 0x370e, v29
	v_fmac_f16_e32 v6, 0x370e, v5
	v_fmac_f16_e32 v26, 0x370e, v29
	v_fmac_f16_e32 v7, 0x370e, v5
	v_fmac_f16_e32 v25, 0x370e, v29
	v_add_f16_e32 v5, v31, v71
	v_add_f16_e32 v29, v70, v77
	v_pack_b32_f16 v4, v4, v32
	v_add_f16_e32 v31, v79, v71
	v_add_f16_e32 v30, v30, v71
	;; [unrolled: 1-line block ×5, first 2 shown]
	v_sub_f16_e32 v71, v29, v85
	v_add_f16_e32 v77, v25, v30
	v_sub_f16_e32 v79, v32, v7
	v_sub_f16_e32 v80, v31, v26
	v_add_f16_e32 v89, v6, v69
	v_add_f16_e32 v26, v26, v31
	v_sub_f16_e32 v6, v69, v6
	v_sub_f16_e32 v25, v30, v25
	v_add_f16_e32 v7, v7, v32
	v_sub_f16_e32 v5, v5, v86
	v_add_f16_e32 v29, v85, v29
	v_pack_b32_f16 v30, v70, v71
	v_pack_b32_f16 v31, v77, v79
	;; [unrolled: 1-line block ×6, first 2 shown]
	ds_store_2addr_b32 v64, v4, v30 offset1:27
	ds_store_2addr_b32 v64, v31, v32 offset0:54 offset1:81
	ds_store_2addr_b32 v64, v6, v7 offset0:108 offset1:135
	ds_store_b32 v64, v5 offset:648
	global_wb scope:SCOPE_SE
	s_wait_dscnt 0x0
	s_barrier_signal -1
	s_barrier_wait -1
	global_inv scope:SCOPE_SE
	s_clause 0x1
	global_load_b128 v[4:7], v[27:28], off offset:744
	global_load_b64 v[25:26], v[27:28], off offset:760
	ds_load_2addr_b32 v[27:28], v33 offset1:189
	ds_load_2addr_b32 v[29:30], v87 offset0:58 offset1:247
	ds_load_2addr_b32 v[31:32], v88 offset0:52 offset1:241
	ds_load_b32 v85, v33 offset:4536
	s_wait_dscnt 0x3
	v_lshrrev_b32_e32 v89, 16, v28
	s_wait_dscnt 0x2
	v_lshrrev_b32_e32 v90, 16, v29
	;; [unrolled: 2-line block ×4, first 2 shown]
	v_lshrrev_b32_e32 v91, 16, v30
	v_lshrrev_b32_e32 v92, 16, v31
	;; [unrolled: 1-line block ×3, first 2 shown]
	s_wait_loadcnt 0x1
	v_lshrrev_b32_e32 v80, 16, v4
	v_lshrrev_b32_e32 v79, 16, v5
	s_wait_loadcnt 0x0
	v_lshrrev_b32_e32 v69, 16, v25
	v_lshrrev_b32_e32 v71, 16, v26
	;; [unrolled: 1-line block ×4, first 2 shown]
	v_mul_f16_e32 v95, v89, v80
	v_mul_f16_e32 v96, v28, v80
	;; [unrolled: 1-line block ×12, first 2 shown]
	v_fma_f16 v28, v28, v4, -v95
	v_fmac_f16_e32 v96, v89, v4
	v_fma_f16 v29, v29, v5, -v97
	v_fmac_f16_e32 v98, v90, v5
	;; [unrolled: 2-line block ×6, first 2 shown]
	v_add_f16_e32 v89, v28, v85
	v_add_f16_e32 v90, v96, v106
	;; [unrolled: 1-line block ×4, first 2 shown]
	v_sub_f16_e32 v28, v28, v85
	v_sub_f16_e32 v85, v96, v106
	;; [unrolled: 1-line block ×4, first 2 shown]
	v_add_f16_e32 v93, v30, v31
	v_add_f16_e32 v94, v100, v102
	v_sub_f16_e32 v30, v31, v30
	v_sub_f16_e32 v31, v102, v100
	v_add_f16_e32 v95, v91, v89
	v_add_f16_e32 v96, v92, v90
	v_sub_f16_e32 v97, v91, v89
	v_sub_f16_e32 v98, v92, v90
	;; [unrolled: 1-line block ×6, first 2 shown]
	v_add_f16_e32 v99, v30, v29
	v_add_f16_e32 v100, v31, v32
	v_sub_f16_e32 v101, v30, v29
	v_sub_f16_e32 v102, v31, v32
	;; [unrolled: 1-line block ×3, first 2 shown]
	v_add_f16_e32 v93, v93, v95
	v_add_f16_e32 v94, v94, v96
	v_sub_f16_e32 v32, v32, v85
	v_sub_f16_e32 v30, v28, v30
	;; [unrolled: 1-line block ×3, first 2 shown]
	v_add_f16_e32 v28, v99, v28
	v_add_f16_e32 v85, v100, v85
	v_mul_f16_e32 v89, 0x3a52, v89
	v_mul_f16_e32 v90, 0x3a52, v90
	v_mul_f16_e32 v95, 0x2b26, v91
	v_mul_f16_e32 v96, 0x2b26, v92
	v_mul_f16_e32 v99, 0xb846, v101
	v_mul_f16_e32 v100, 0xb846, v102
	v_mul_f16_e32 v101, 0x3b00, v29
	v_add_f16_e32 v27, v27, v93
	v_add_f16_e32 v86, v86, v94
	v_mul_f16_e32 v102, 0x3b00, v32
	v_fmamk_f16 v91, v91, 0x2b26, v89
	v_fmamk_f16 v92, v92, 0x2b26, v90
	v_fma_f16 v95, v97, 0x39e0, -v95
	v_fma_f16 v96, v98, 0x39e0, -v96
	;; [unrolled: 1-line block ×4, first 2 shown]
	v_fmamk_f16 v97, v30, 0x3574, v99
	v_fmamk_f16 v98, v31, 0x3574, v100
	v_fma_f16 v29, v29, 0x3b00, -v99
	v_fma_f16 v30, v30, 0xb574, -v101
	v_fmamk_f16 v93, v93, 0xbcab, v27
	v_fmamk_f16 v94, v94, 0xbcab, v86
	v_fma_f16 v32, v32, 0x3b00, -v100
	v_fma_f16 v31, v31, 0xb574, -v102
	v_fmac_f16_e32 v97, 0x370e, v28
	v_fmac_f16_e32 v98, 0x370e, v85
	;; [unrolled: 1-line block ×4, first 2 shown]
	v_pack_b32_f16 v27, v27, v86
	v_add_f16_e32 v28, v91, v93
	v_add_f16_e32 v86, v92, v94
	v_fmac_f16_e32 v32, 0x370e, v85
	v_fmac_f16_e32 v31, 0x370e, v85
	v_add_f16_e32 v85, v95, v93
	v_add_f16_e32 v89, v89, v93
	;; [unrolled: 1-line block ×5, first 2 shown]
	v_sub_f16_e32 v93, v86, v97
	v_add_f16_e32 v94, v31, v89
	v_sub_f16_e32 v95, v90, v30
	v_sub_f16_e32 v96, v85, v32
	v_add_f16_e32 v99, v29, v91
	v_add_f16_e32 v32, v32, v85
	v_sub_f16_e32 v29, v91, v29
	v_sub_f16_e32 v31, v89, v31
	v_add_f16_e32 v30, v30, v90
	v_sub_f16_e32 v85, v28, v98
	v_add_f16_e32 v86, v97, v86
	v_pack_b32_f16 v28, v92, v93
	v_pack_b32_f16 v89, v94, v95
	;; [unrolled: 1-line block ×6, first 2 shown]
	ds_store_2addr_b32 v33, v27, v28 offset1:189
	ds_store_2addr_b32 v87, v89, v90 offset0:58 offset1:247
	ds_store_2addr_b32 v88, v29, v30 offset0:52 offset1:241
	ds_store_b32 v33, v31 offset:4536
	global_wb scope:SCOPE_SE
	s_wait_dscnt 0x0
	s_barrier_signal -1
	s_barrier_wait -1
	global_inv scope:SCOPE_SE
	s_clause 0x5
	global_load_b32 v27, v[8:9], off offset:5292
	global_load_b32 v32, v33, s[0:1] offset:4284
	global_load_b32 v89, v33, s[0:1] offset:2520
	;; [unrolled: 1-line block ×5, first 2 shown]
	ds_load_2addr_b32 v[28:29], v33 offset1:189
	v_add_nc_u32_e32 v95, 0x2f0, v33
	v_add_nc_u32_e32 v96, 0x9d0, v33
	s_wait_dscnt 0x0
	v_lshrrev_b32_e32 v30, 16, v28
	v_lshrrev_b32_e32 v93, 16, v29
	s_wait_loadcnt 0x4
	v_lshrrev_b32_e32 v101, 16, v32
	s_wait_loadcnt 0x3
	;; [unrolled: 2-line block ×3, first 2 shown]
	v_lshrrev_b32_e32 v94, 16, v90
	v_lshrrev_b32_e32 v31, 16, v27
	s_wait_loadcnt 0x1
	v_lshrrev_b32_e32 v97, 16, v91
	s_wait_loadcnt 0x0
	v_lshrrev_b32_e32 v99, 16, v92
	v_mul_f16_e32 v98, v93, v94
	v_mul_f16_e32 v87, v30, v31
	;; [unrolled: 1-line block ×4, first 2 shown]
	s_delay_alu instid0(VALU_DEP_4) | instskip(NEXT) | instid1(VALU_DEP_4)
	v_fma_f16 v29, v29, v90, -v98
	v_fma_f16 v28, v28, v27, -v87
	s_delay_alu instid0(VALU_DEP_4) | instskip(SKIP_2) | instid1(VALU_DEP_3)
	v_fmac_f16_e32 v31, v30, v27
	v_add_nc_u32_e32 v27, 0x600, v33
	v_fmac_f16_e32 v94, v93, v90
	v_pack_b32_f16 v30, v28, v31
	v_add_nc_u32_e32 v28, 0xd00, v33
	s_delay_alu instid0(VALU_DEP_3)
	v_pack_b32_f16 v29, v29, v94
	ds_store_b32 v33, v30
	ds_load_2addr_b32 v[30:31], v27 offset0:57 offset1:246
	ds_load_2addr_b32 v[87:88], v28 offset0:50 offset1:239
	s_wait_dscnt 0x1
	v_lshrrev_b32_e32 v90, 16, v30
	v_mul_f16_e32 v93, v30, v97
	s_wait_dscnt 0x0
	v_lshrrev_b32_e32 v98, 16, v87
	v_mul_f16_e32 v102, v87, v99
	v_lshrrev_b32_e32 v103, 16, v31
	v_lshrrev_b32_e32 v105, 16, v88
	v_mul_f16_e32 v97, v90, v97
	v_mul_f16_e32 v104, v31, v100
	v_fmac_f16_e32 v93, v90, v91
	v_mul_f16_e32 v90, v98, v99
	v_fmac_f16_e32 v102, v98, v92
	v_mul_f16_e32 v98, v103, v100
	v_mul_f16_e32 v106, v88, v101
	;; [unrolled: 1-line block ×3, first 2 shown]
	v_fma_f16 v30, v30, v91, -v97
	v_fmac_f16_e32 v104, v103, v89
	v_fma_f16 v87, v87, v92, -v90
	v_fma_f16 v31, v31, v89, -v98
	v_fmac_f16_e32 v106, v105, v32
	v_fma_f16 v32, v88, v32, -v99
	v_pack_b32_f16 v30, v30, v93
	v_pack_b32_f16 v87, v87, v102
	;; [unrolled: 1-line block ×3, first 2 shown]
	s_delay_alu instid0(VALU_DEP_4)
	v_pack_b32_f16 v32, v32, v106
	ds_store_2addr_b32 v95, v29, v30 offset0:1 offset1:253
	ds_store_2addr_b32 v96, v31, v87 offset0:2 offset1:254
	ds_store_b32 v33, v32 offset:4284
	s_and_saveexec_b32 s2, vcc_lo
	s_cbranch_execz .LBB0_17
; %bb.16:
	s_wait_alu 0xfffe
	v_add_co_u32 v29, s0, s0, v33
	s_wait_alu 0xf1ff
	v_add_co_ci_u32_e64 v30, null, s1, 0, s0
	s_clause 0x2
	global_load_b32 v31, v[29:30], off offset:1512
	global_load_b32 v32, v[29:30], off offset:3276
	;; [unrolled: 1-line block ×3, first 2 shown]
	ds_load_b32 v30, v33 offset:1512
	ds_load_b32 v87, v33 offset:3276
	;; [unrolled: 1-line block ×3, first 2 shown]
	s_wait_dscnt 0x2
	v_lshrrev_b32_e32 v89, 16, v30
	s_wait_dscnt 0x1
	v_lshrrev_b32_e32 v91, 16, v87
	;; [unrolled: 2-line block ×3, first 2 shown]
	s_wait_loadcnt 0x2
	v_lshrrev_b32_e32 v90, 16, v31
	s_wait_loadcnt 0x1
	v_lshrrev_b32_e32 v92, 16, v32
	s_wait_loadcnt 0x0
	v_lshrrev_b32_e32 v94, 16, v29
	v_mul_f16_e32 v95, v89, v90
	v_mul_f16_e32 v90, v30, v90
	;; [unrolled: 1-line block ×6, first 2 shown]
	v_fma_f16 v30, v30, v31, -v95
	v_fmac_f16_e32 v90, v89, v31
	v_fma_f16 v31, v87, v32, -v96
	v_fmac_f16_e32 v92, v91, v32
	;; [unrolled: 2-line block ×3, first 2 shown]
	v_pack_b32_f16 v29, v30, v90
	s_delay_alu instid0(VALU_DEP_4) | instskip(NEXT) | instid1(VALU_DEP_3)
	v_pack_b32_f16 v30, v31, v92
	v_pack_b32_f16 v31, v32, v94
	ds_store_b32 v33, v29 offset:1512
	ds_store_b32 v33, v30 offset:3276
	;; [unrolled: 1-line block ×3, first 2 shown]
.LBB0_17:
	s_wait_alu 0xfffe
	s_or_b32 exec_lo, exec_lo, s2
	global_wb scope:SCOPE_SE
	s_wait_dscnt 0x0
	s_barrier_signal -1
	s_barrier_wait -1
	global_inv scope:SCOPE_SE
	ds_load_2addr_b32 v[29:30], v33 offset1:189
	ds_load_2addr_b32 v[31:32], v27 offset0:57 offset1:246
	ds_load_2addr_b32 v[27:28], v28 offset0:50 offset1:239
	s_and_saveexec_b32 s0, vcc_lo
	s_cbranch_execz .LBB0_19
; %bb.18:
	ds_load_b32 v85, v33 offset:1512
	ds_load_b32 v83, v33 offset:3276
	;; [unrolled: 1-line block ×3, first 2 shown]
	s_wait_dscnt 0x2
	v_lshrrev_b32_e32 v86, 16, v85
	s_wait_dscnt 0x1
	v_lshrrev_b32_e32 v84, 16, v83
	;; [unrolled: 2-line block ×3, first 2 shown]
.LBB0_19:
	s_wait_alu 0xfffe
	s_or_b32 exec_lo, exec_lo, s0
	v_add_f16_e32 v87, v83, v81
	s_delay_alu instid0(VALU_DEP_2)
	v_add_f16_e32 v90, v84, v82
	v_add_f16_e32 v91, v85, v83
	s_wait_dscnt 0x1
	v_pk_add_f16 v88, v29, v31
	v_pk_add_f16 v89, v30, v32
	v_fmac_f16_e32 v85, -0.5, v87
	v_sub_f16_e32 v87, v84, v82
	v_add_f16_e32 v84, v86, v84
	v_fmac_f16_e32 v86, -0.5, v90
	v_sub_f16_e32 v90, v83, v81
	v_add_f16_e32 v81, v91, v81
	v_fmamk_f16 v83, v87, 0xbaee, v85
	v_fmac_f16_e32 v85, 0x3aee, v87
	s_wait_dscnt 0x0
	v_pk_add_f16 v87, v31, v27
	v_pk_add_f16 v31, v31, v27 neg_lo:[0,1] neg_hi:[0,1]
	v_add_f16_e32 v82, v84, v82
	v_fmamk_f16 v84, v90, 0x3aee, v86
	v_fmac_f16_e32 v86, 0xbaee, v90
	v_pk_add_f16 v90, v32, v28
	v_pk_add_f16 v32, v32, v28 neg_lo:[0,1] neg_hi:[0,1]
	v_pk_fma_f16 v29, v87, 0.5, v29 op_sel_hi:[1,0,1] neg_lo:[1,0,0] neg_hi:[1,0,0]
	v_pk_mul_f16 v31, 0x3aee, v31 op_sel_hi:[0,1]
	v_pk_add_f16 v27, v88, v27
	v_pk_fma_f16 v30, v90, 0.5, v30 op_sel_hi:[1,0,1] neg_lo:[1,0,0] neg_hi:[1,0,0]
	v_pk_mul_f16 v32, 0x3aee, v32 op_sel_hi:[0,1]
	v_pk_add_f16 v28, v89, v28
	v_pk_add_f16 v87, v29, v31 op_sel:[0,1] op_sel_hi:[1,0] neg_lo:[0,1] neg_hi:[0,1]
	v_pk_add_f16 v29, v29, v31 op_sel:[0,1] op_sel_hi:[1,0]
	global_wb scope:SCOPE_SE
	v_pk_add_f16 v31, v30, v32 op_sel:[0,1] op_sel_hi:[1,0] neg_lo:[0,1] neg_hi:[0,1]
	v_pk_add_f16 v30, v30, v32 op_sel:[0,1] op_sel_hi:[1,0]
	s_barrier_signal -1
	v_bfi_b32 v32, 0xffff, v87, v29
	v_bfi_b32 v29, 0xffff, v29, v87
	s_barrier_wait -1
	v_bfi_b32 v87, 0xffff, v31, v30
	v_bfi_b32 v30, 0xffff, v30, v31
	global_inv scope:SCOPE_SE
	ds_store_2addr_b32 v47, v27, v32 offset1:1
	ds_store_b32 v47, v29 offset:8
	ds_store_2addr_b32 v49, v28, v87 offset1:1
	ds_store_b32 v49, v30 offset:8
	s_and_saveexec_b32 s0, vcc_lo
	s_cbranch_execz .LBB0_21
; %bb.20:
	v_lshlrev_b32_e32 v27, 2, v48
	v_perm_b32 v28, v84, v83, 0x5040100
	v_perm_b32 v29, v82, v81, 0x5040100
	;; [unrolled: 1-line block ×3, first 2 shown]
	ds_store_2addr_b32 v27, v29, v28 offset1:1
	ds_store_b32 v27, v30 offset:8
.LBB0_21:
	s_wait_alu 0xfffe
	s_or_b32 exec_lo, exec_lo, s0
	v_add_nc_u32_e32 v29, 0x600, v33
	v_add_nc_u32_e32 v30, 0xd00, v33
	global_wb scope:SCOPE_SE
	s_wait_dscnt 0x0
	s_barrier_signal -1
	s_barrier_wait -1
	global_inv scope:SCOPE_SE
	ds_load_2addr_b32 v[27:28], v33 offset1:189
	ds_load_2addr_b32 v[31:32], v29 offset0:57 offset1:246
	ds_load_2addr_b32 v[29:30], v30 offset0:50 offset1:239
	s_and_saveexec_b32 s0, vcc_lo
	s_cbranch_execz .LBB0_23
; %bb.22:
	ds_load_b32 v81, v33 offset:1512
	ds_load_b32 v83, v33 offset:3276
	;; [unrolled: 1-line block ×3, first 2 shown]
	s_wait_dscnt 0x2
	v_lshrrev_b32_e32 v82, 16, v81
	s_wait_dscnt 0x1
	v_lshrrev_b32_e32 v84, 16, v83
	;; [unrolled: 2-line block ×3, first 2 shown]
.LBB0_23:
	s_wait_alu 0xfffe
	s_or_b32 exec_lo, exec_lo, s0
	s_wait_dscnt 0x1
	v_lshrrev_b32_e32 v47, 16, v31
	s_wait_dscnt 0x0
	v_lshrrev_b32_e32 v49, 16, v29
	v_lshrrev_b32_e32 v88, 16, v32
	;; [unrolled: 1-line block ×4, first 2 shown]
	v_mul_f16_e32 v89, v60, v47
	v_mul_f16_e32 v60, v60, v31
	;; [unrolled: 1-line block ×4, first 2 shown]
	v_lshrrev_b32_e32 v87, 16, v28
	v_fmac_f16_e32 v89, v15, v31
	v_mul_f16_e32 v31, v57, v88
	v_fma_f16 v15, v15, v47, -v60
	v_fmac_f16_e32 v91, v16, v29
	v_mul_f16_e32 v29, v57, v32
	v_mul_f16_e32 v47, v56, v90
	v_fmac_f16_e32 v31, v13, v32
	v_mul_f16_e32 v32, v56, v30
	v_fma_f16 v16, v16, v49, -v58
	v_fma_f16 v13, v13, v88, -v29
	v_mul_f16_e32 v29, v55, v84
	v_fmac_f16_e32 v47, v14, v30
	v_mul_f16_e32 v30, v55, v83
	v_fma_f16 v14, v14, v90, -v32
	v_mul_f16_e32 v32, v54, v86
	v_mul_f16_e32 v49, v54, v85
	v_fmac_f16_e32 v29, v11, v83
	v_fma_f16 v11, v11, v84, -v30
	v_add_f16_e32 v30, v89, v91
	v_fmac_f16_e32 v32, v12, v85
	v_fma_f16 v12, v12, v86, -v49
	v_add_f16_e32 v49, v15, v16
	v_add_f16_e32 v54, v27, v89
	v_fma_f16 v55, -0.5, v30, v27
	v_sub_f16_e32 v27, v15, v16
	v_add_f16_e32 v15, v48, v15
	v_fmac_f16_e32 v48, -0.5, v49
	v_sub_f16_e32 v30, v89, v91
	v_add_f16_e32 v54, v54, v91
	v_fmamk_f16 v49, v27, 0xbaee, v55
	v_fmac_f16_e32 v55, 0x3aee, v27
	v_add_f16_e32 v15, v15, v16
	v_add_f16_e32 v16, v31, v47
	v_fmamk_f16 v56, v30, 0x3aee, v48
	v_add_f16_e32 v27, v28, v31
	v_fmac_f16_e32 v48, 0xbaee, v30
	v_add_f16_e32 v30, v13, v14
	v_fmac_f16_e32 v28, -0.5, v16
	v_sub_f16_e32 v16, v13, v14
	v_add_f16_e32 v57, v27, v47
	v_add_f16_e32 v13, v87, v13
	v_fmac_f16_e32 v87, -0.5, v30
	v_sub_f16_e32 v27, v31, v47
	v_fmamk_f16 v47, v16, 0xbaee, v28
	v_fmac_f16_e32 v28, 0x3aee, v16
	v_add_f16_e32 v13, v13, v14
	v_add_f16_e32 v14, v29, v32
	v_fmamk_f16 v16, v27, 0x3aee, v87
	v_fmac_f16_e32 v87, 0xbaee, v27
	v_add_f16_e32 v27, v11, v12
	v_add_f16_e32 v30, v81, v29
	v_fmac_f16_e32 v81, -0.5, v14
	v_sub_f16_e32 v14, v11, v12
	v_add_f16_e32 v11, v82, v11
	v_fmac_f16_e32 v82, -0.5, v27
	v_sub_f16_e32 v58, v29, v32
	v_add_f16_e32 v27, v30, v32
	v_fmamk_f16 v30, v14, 0xbaee, v81
	v_fmac_f16_e32 v81, 0x3aee, v14
	v_add_f16_e32 v29, v11, v12
	v_fmamk_f16 v31, v58, 0x3aee, v82
	v_fmac_f16_e32 v82, 0xbaee, v58
	v_pack_b32_f16 v11, v54, v15
	v_pack_b32_f16 v12, v49, v56
	;; [unrolled: 1-line block ×6, first 2 shown]
	global_wb scope:SCOPE_SE
	s_barrier_signal -1
	s_barrier_wait -1
	global_inv scope:SCOPE_SE
	ds_store_2addr_b32 v52, v11, v12 offset1:3
	ds_store_b32 v52, v14 offset:24
	ds_store_2addr_b32 v51, v13, v15 offset1:3
	ds_store_b32 v51, v16 offset:24
	s_and_saveexec_b32 s0, vcc_lo
	s_cbranch_execz .LBB0_25
; %bb.24:
	v_and_b32_e32 v11, 0xffff, v50
	v_perm_b32 v12, v29, v27, 0x5040100
	v_perm_b32 v13, v31, v30, 0x5040100
	;; [unrolled: 1-line block ×3, first 2 shown]
	s_delay_alu instid0(VALU_DEP_4)
	v_lshlrev_b32_e32 v11, 2, v11
	ds_store_2addr_b32 v11, v12, v13 offset1:3
	ds_store_b32 v11, v14 offset:24
.LBB0_25:
	s_wait_alu 0xfffe
	s_or_b32 exec_lo, exec_lo, s0
	v_add_nc_u32_e32 v13, 0x600, v33
	v_add_nc_u32_e32 v14, 0xd00, v33
	global_wb scope:SCOPE_SE
	s_wait_dscnt 0x0
	s_barrier_signal -1
	s_barrier_wait -1
	global_inv scope:SCOPE_SE
	ds_load_2addr_b32 v[11:12], v33 offset1:189
	ds_load_2addr_b32 v[15:16], v13 offset0:57 offset1:246
	ds_load_2addr_b32 v[13:14], v14 offset0:50 offset1:239
	s_and_saveexec_b32 s0, vcc_lo
	s_cbranch_execz .LBB0_27
; %bb.26:
	ds_load_b32 v27, v33 offset:1512
	ds_load_b32 v30, v33 offset:3276
	;; [unrolled: 1-line block ×3, first 2 shown]
	s_wait_dscnt 0x2
	v_lshrrev_b32_e32 v29, 16, v27
	s_wait_dscnt 0x1
	v_lshrrev_b32_e32 v31, 16, v30
	;; [unrolled: 2-line block ×3, first 2 shown]
.LBB0_27:
	s_wait_alu 0xfffe
	s_or_b32 exec_lo, exec_lo, s0
	s_wait_dscnt 0x1
	v_lshrrev_b32_e32 v28, 16, v15
	s_wait_dscnt 0x0
	v_lshrrev_b32_e32 v47, 16, v13
	v_lshrrev_b32_e32 v49, 16, v16
	v_mul_f16_e32 v51, v68, v15
	v_lshrrev_b32_e32 v52, 16, v14
	v_mul_f16_e32 v50, v68, v28
	v_mul_f16_e32 v54, v67, v47
	;; [unrolled: 1-line block ×3, first 2 shown]
	v_lshrrev_b32_e32 v32, 16, v11
	v_lshrrev_b32_e32 v48, 16, v12
	v_fmac_f16_e32 v50, v21, v15
	v_fma_f16 v15, v21, v28, -v51
	v_mul_f16_e32 v21, v66, v49
	v_fmac_f16_e32 v54, v22, v13
	v_mul_f16_e32 v13, v66, v16
	v_fma_f16 v22, v22, v47, -v55
	v_mul_f16_e32 v28, v65, v52
	v_fmac_f16_e32 v21, v19, v16
	v_mul_f16_e32 v16, v65, v14
	v_fma_f16 v13, v19, v49, -v13
	v_add_f16_e32 v19, v50, v54
	v_fmac_f16_e32 v28, v20, v14
	v_add_f16_e32 v14, v11, v50
	v_fma_f16 v16, v20, v52, -v16
	v_add_f16_e32 v20, v15, v22
	v_fma_f16 v11, -0.5, v19, v11
	v_sub_f16_e32 v19, v15, v22
	v_add_f16_e32 v15, v32, v15
	v_add_f16_e32 v49, v12, v21
	v_fmac_f16_e32 v32, -0.5, v20
	v_sub_f16_e32 v20, v50, v54
	v_fmamk_f16 v47, v19, 0xbaee, v11
	v_fmac_f16_e32 v11, 0x3aee, v19
	v_add_f16_e32 v15, v15, v22
	v_add_f16_e32 v19, v21, v28
	v_fmamk_f16 v22, v20, 0x3aee, v32
	v_fmac_f16_e32 v32, 0xbaee, v20
	v_add_f16_e32 v20, v13, v16
	v_add_f16_e32 v14, v14, v54
	v_fmac_f16_e32 v12, -0.5, v19
	v_sub_f16_e32 v19, v13, v16
	v_add_f16_e32 v13, v48, v13
	v_fmac_f16_e32 v48, -0.5, v20
	v_sub_f16_e32 v20, v21, v28
	v_add_f16_e32 v21, v49, v28
	v_fmamk_f16 v28, v19, 0xbaee, v12
	v_add_f16_e32 v13, v13, v16
	v_fmac_f16_e32 v12, 0x3aee, v19
	v_fmamk_f16 v16, v20, 0x3aee, v48
	v_fmac_f16_e32 v48, 0xbaee, v20
	v_pack_b32_f16 v14, v14, v15
	v_pack_b32_f16 v15, v47, v22
	;; [unrolled: 1-line block ×6, first 2 shown]
	global_wb scope:SCOPE_SE
	s_barrier_signal -1
	s_barrier_wait -1
	global_inv scope:SCOPE_SE
	ds_store_2addr_b32 v63, v14, v15 offset1:9
	ds_store_b32 v63, v11 offset:72
	ds_store_2addr_b32 v61, v13, v16 offset1:9
	ds_store_b32 v61, v12 offset:72
	s_and_saveexec_b32 s0, vcc_lo
	s_cbranch_execz .LBB0_29
; %bb.28:
	v_mul_f16_e32 v11, v62, v30
	v_mul_f16_e32 v12, v59, v81
	;; [unrolled: 1-line block ×4, first 2 shown]
	v_and_b32_e32 v16, 0xffff, v53
	v_fma_f16 v11, v17, v31, -v11
	v_fma_f16 v12, v18, v82, -v12
	v_fmac_f16_e32 v13, v17, v30
	v_fmac_f16_e32 v14, v18, v81
	s_delay_alu instid0(VALU_DEP_4) | instskip(NEXT) | instid1(VALU_DEP_4)
	v_add_f16_e32 v19, v29, v11
	v_add_f16_e32 v15, v11, v12
	v_sub_f16_e32 v11, v11, v12
	s_delay_alu instid0(VALU_DEP_4)
	v_add_f16_e32 v17, v13, v14
	v_sub_f16_e32 v18, v13, v14
	v_add_f16_e32 v13, v27, v13
	v_fma_f16 v15, -0.5, v15, v29
	v_add_f16_e32 v12, v19, v12
	v_fma_f16 v17, -0.5, v17, v27
	s_delay_alu instid0(VALU_DEP_4) | instskip(NEXT) | instid1(VALU_DEP_4)
	v_add_f16_e32 v13, v13, v14
	v_fmamk_f16 v19, v18, 0xbaee, v15
	v_fmac_f16_e32 v15, 0x3aee, v18
	s_delay_alu instid0(VALU_DEP_4) | instskip(SKIP_3) | instid1(VALU_DEP_4)
	v_fmamk_f16 v18, v11, 0x3aee, v17
	v_fmac_f16_e32 v17, 0xbaee, v11
	v_lshlrev_b32_e32 v11, 2, v16
	v_pack_b32_f16 v12, v13, v12
	v_pack_b32_f16 v14, v18, v19
	s_delay_alu instid0(VALU_DEP_4)
	v_pack_b32_f16 v13, v17, v15
	ds_store_2addr_b32 v11, v12, v13 offset1:9
	ds_store_b32 v11, v14 offset:72
.LBB0_29:
	s_wait_alu 0xfffe
	s_or_b32 exec_lo, exec_lo, s0
	global_wb scope:SCOPE_SE
	s_wait_dscnt 0x0
	s_barrier_signal -1
	s_barrier_wait -1
	global_inv scope:SCOPE_SE
	ds_load_2addr_b32 v[11:12], v33 offset1:189
	v_add_nc_u32_e32 v17, 0x500, v33
	v_add_nc_u32_e32 v18, 0xb00, v33
	ds_load_b32 v19, v33 offset:4536
	ds_load_2addr_b32 v[13:14], v17 offset0:58 offset1:247
	ds_load_2addr_b32 v[15:16], v18 offset0:52 offset1:241
	global_wb scope:SCOPE_SE
	s_wait_dscnt 0x0
	s_barrier_signal -1
	s_barrier_wait -1
	global_inv scope:SCOPE_SE
	s_mov_b32 s10, 0x7a4ab0dc
	s_mov_b32 s11, 0x3f48c498
	v_lshrrev_b32_e32 v21, 16, v12
	v_mul_f16_e32 v27, v78, v12
	v_lshrrev_b32_e32 v20, 16, v11
	v_lshrrev_b32_e32 v22, 16, v19
	;; [unrolled: 1-line block ×6, first 2 shown]
	v_mul_f16_e32 v47, v78, v21
	v_fma_f16 v21, v0, v21, -v27
	v_mul_f16_e32 v27, v75, v13
	v_mul_f16_e32 v48, v73, v14
	;; [unrolled: 1-line block ×6, first 2 shown]
	v_fmac_f16_e32 v47, v0, v12
	v_mul_f16_e32 v0, v75, v29
	v_fma_f16 v12, v1, v29, -v27
	v_mul_f16_e32 v27, v73, v30
	v_mul_f16_e32 v29, v74, v31
	v_fma_f16 v30, v2, v30, -v48
	v_mul_f16_e32 v48, v72, v32
	v_fmac_f16_e32 v0, v1, v13
	v_fmac_f16_e32 v27, v2, v14
	;; [unrolled: 1-line block ×4, first 2 shown]
	v_fma_f16 v1, v24, v22, -v28
	v_fma_f16 v2, v3, v31, -v49
	v_fmac_f16_e32 v48, v23, v16
	v_fma_f16 v3, v23, v32, -v50
	v_add_f16_e32 v13, v47, v51
	v_add_f16_e32 v14, v21, v1
	v_sub_f16_e32 v1, v21, v1
	v_add_f16_e32 v16, v0, v48
	v_add_f16_e32 v19, v12, v3
	v_sub_f16_e32 v0, v0, v48
	v_sub_f16_e32 v3, v12, v3
	v_add_f16_e32 v12, v27, v29
	v_add_f16_e32 v21, v30, v2
	v_sub_f16_e32 v22, v29, v27
	;; [unrolled: 4-line block ×3, first 2 shown]
	v_sub_f16_e32 v27, v16, v13
	v_sub_f16_e32 v28, v19, v14
	;; [unrolled: 1-line block ×6, first 2 shown]
	v_add_f16_e32 v29, v22, v0
	v_add_f16_e32 v30, v2, v3
	v_sub_f16_e32 v31, v22, v0
	v_sub_f16_e32 v32, v2, v3
	v_add_f16_e32 v12, v12, v23
	v_add_f16_e32 v21, v21, v24
	v_sub_f16_e32 v0, v0, v15
	v_sub_f16_e32 v3, v3, v1
	;; [unrolled: 1-line block ×4, first 2 shown]
	v_add_f16_e32 v15, v29, v15
	v_add_f16_e32 v1, v30, v1
	;; [unrolled: 1-line block ×4, first 2 shown]
	v_mul_f16_e32 v13, 0x3a52, v13
	v_mul_f16_e32 v14, 0x3a52, v14
	;; [unrolled: 1-line block ×8, first 2 shown]
	v_fmamk_f16 v12, v12, 0xbcab, v11
	v_fmamk_f16 v21, v21, 0xbcab, v20
	;; [unrolled: 1-line block ×4, first 2 shown]
	v_fma_f16 v23, v27, 0x39e0, -v23
	v_fma_f16 v24, v28, 0x39e0, -v24
	;; [unrolled: 1-line block ×4, first 2 shown]
	v_fmamk_f16 v27, v22, 0xb574, v29
	v_fmamk_f16 v28, v2, 0xb574, v30
	v_fma_f16 v0, v0, 0xbb00, -v29
	v_fma_f16 v3, v3, 0xbb00, -v30
	v_fma_f16 v22, v22, 0x3574, -v31
	v_fma_f16 v2, v2, 0x3574, -v32
	v_add_f16_e32 v16, v16, v12
	v_add_f16_e32 v19, v19, v21
	v_fmac_f16_e32 v27, 0xb70e, v15
	v_fmac_f16_e32 v28, 0xb70e, v1
	v_add_f16_e32 v23, v23, v12
	v_add_f16_e32 v24, v24, v21
	;; [unrolled: 1-line block ×4, first 2 shown]
	v_fmac_f16_e32 v0, 0xb70e, v15
	v_fmac_f16_e32 v2, 0xb70e, v1
	v_fmac_f16_e32 v22, 0xb70e, v15
	v_fmac_f16_e32 v3, 0xb70e, v1
	v_add_f16_e32 v1, v28, v16
	v_sub_f16_e32 v14, v19, v27
	v_add_f16_e32 v15, v2, v12
	v_sub_f16_e32 v21, v13, v22
	v_sub_f16_e32 v29, v23, v3
	v_add_f16_e32 v30, v0, v24
	v_add_f16_e32 v3, v3, v23
	v_sub_f16_e32 v0, v24, v0
	v_sub_f16_e32 v2, v12, v2
	v_add_f16_e32 v12, v22, v13
	v_sub_f16_e32 v13, v16, v28
	v_add_f16_e32 v16, v27, v19
	v_pack_b32_f16 v11, v11, v20
	v_pack_b32_f16 v1, v1, v14
	;; [unrolled: 1-line block ×7, first 2 shown]
	ds_store_2addr_b32 v64, v11, v1 offset1:27
	ds_store_2addr_b32 v64, v14, v15 offset0:54 offset1:81
	ds_store_2addr_b32 v64, v0, v2 offset0:108 offset1:135
	ds_store_b32 v64, v3 offset:648
	global_wb scope:SCOPE_SE
	s_wait_dscnt 0x0
	s_barrier_signal -1
	s_barrier_wait -1
	global_inv scope:SCOPE_SE
	ds_load_2addr_b32 v[0:1], v33 offset1:189
	ds_load_2addr_b32 v[2:3], v17 offset0:58 offset1:247
	ds_load_2addr_b32 v[11:12], v18 offset0:52 offset1:241
	ds_load_b32 v13, v33 offset:4536
	s_wait_dscnt 0x3
	v_lshrrev_b32_e32 v14, 16, v1
	s_wait_dscnt 0x2
	v_lshrrev_b32_e32 v16, 16, v2
	v_lshrrev_b32_e32 v19, 16, v3
	v_mul_f16_e32 v21, v80, v1
	s_wait_dscnt 0x1
	v_lshrrev_b32_e32 v22, 16, v11
	v_mul_f16_e32 v20, v80, v14
	v_lshrrev_b32_e32 v23, 16, v12
	s_wait_dscnt 0x0
	v_lshrrev_b32_e32 v24, 16, v13
	v_mul_f16_e32 v27, v77, v3
	v_mul_f16_e32 v28, v70, v22
	v_fmac_f16_e32 v20, v4, v1
	v_fma_f16 v1, v4, v14, -v21
	v_mul_f16_e32 v4, v79, v16
	v_mul_f16_e32 v14, v79, v2
	;; [unrolled: 1-line block ×3, first 2 shown]
	v_fmac_f16_e32 v28, v7, v11
	v_mul_f16_e32 v11, v70, v11
	v_fmac_f16_e32 v4, v5, v2
	v_fma_f16 v2, v5, v16, -v14
	v_fmac_f16_e32 v21, v6, v3
	v_fma_f16 v3, v6, v19, -v27
	v_mul_f16_e32 v5, v71, v24
	v_mul_f16_e32 v6, v71, v13
	;; [unrolled: 1-line block ×4, first 2 shown]
	v_fma_f16 v7, v7, v22, -v11
	v_fmac_f16_e32 v5, v26, v13
	v_fma_f16 v6, v26, v24, -v6
	v_fmac_f16_e32 v14, v25, v12
	v_fma_f16 v11, v25, v23, -v16
	v_sub_f16_e32 v19, v28, v21
	v_add_f16_e32 v12, v20, v5
	v_add_f16_e32 v13, v1, v6
	v_sub_f16_e32 v1, v1, v6
	v_add_f16_e32 v6, v4, v14
	v_add_f16_e32 v16, v2, v11
	v_sub_f16_e32 v5, v20, v5
	v_sub_f16_e32 v4, v4, v14
	;; [unrolled: 1-line block ×3, first 2 shown]
	v_add_f16_e32 v11, v21, v28
	v_add_f16_e32 v14, v3, v7
	v_sub_f16_e32 v3, v7, v3
	v_add_f16_e32 v7, v6, v12
	v_add_f16_e32 v20, v16, v13
	v_lshrrev_b32_e32 v15, 16, v0
	v_sub_f16_e32 v21, v6, v12
	v_sub_f16_e32 v22, v16, v13
	;; [unrolled: 1-line block ×6, first 2 shown]
	v_add_f16_e32 v23, v19, v4
	v_add_f16_e32 v24, v3, v2
	v_sub_f16_e32 v25, v19, v4
	v_sub_f16_e32 v26, v3, v2
	v_add_f16_e32 v7, v11, v7
	v_add_f16_e32 v11, v14, v20
	v_sub_f16_e32 v4, v4, v5
	v_sub_f16_e32 v2, v2, v1
	;; [unrolled: 1-line block ×4, first 2 shown]
	v_add_f16_e32 v5, v23, v5
	v_add_f16_e32 v1, v24, v1
	;; [unrolled: 1-line block ×4, first 2 shown]
	v_mul_f16_e32 v12, 0x3a52, v12
	v_mul_f16_e32 v13, 0x3a52, v13
	;; [unrolled: 1-line block ×8, first 2 shown]
	v_fmamk_f16 v7, v7, 0xbcab, v0
	v_fmamk_f16 v11, v11, 0xbcab, v14
	v_fmamk_f16 v6, v6, 0x2b26, v12
	v_fmamk_f16 v16, v16, 0x2b26, v13
	v_fma_f16 v15, v21, 0x39e0, -v15
	v_fma_f16 v20, v22, 0x39e0, -v20
	v_fma_f16 v12, v21, 0xb9e0, -v12
	v_fma_f16 v13, v22, 0xb9e0, -v13
	v_fmamk_f16 v21, v19, 0xb574, v23
	v_fmamk_f16 v22, v3, 0xb574, v24
	v_fma_f16 v4, v4, 0xbb00, -v23
	v_fma_f16 v2, v2, 0xbb00, -v24
	;; [unrolled: 1-line block ×4, first 2 shown]
	v_add_f16_e32 v6, v6, v7
	v_add_f16_e32 v16, v16, v11
	v_fmac_f16_e32 v21, 0xb70e, v5
	v_fmac_f16_e32 v22, 0xb70e, v1
	v_add_f16_e32 v15, v15, v7
	v_add_f16_e32 v20, v20, v11
	;; [unrolled: 1-line block ×4, first 2 shown]
	v_fmac_f16_e32 v4, 0xb70e, v5
	v_fmac_f16_e32 v3, 0xb70e, v1
	;; [unrolled: 1-line block ×4, first 2 shown]
	v_add_f16_e32 v1, v22, v6
	v_sub_f16_e32 v5, v16, v21
	v_add_f16_e32 v12, v3, v7
	v_sub_f16_e32 v13, v11, v19
	v_sub_f16_e32 v23, v15, v2
	v_add_f16_e32 v24, v4, v20
	v_add_f16_e32 v2, v2, v15
	v_sub_f16_e32 v4, v20, v4
	v_sub_f16_e32 v3, v7, v3
	v_add_f16_e32 v7, v19, v11
	v_sub_f16_e32 v6, v6, v22
	v_add_f16_e32 v11, v21, v16
	v_pack_b32_f16 v0, v0, v14
	v_pack_b32_f16 v1, v1, v5
	;; [unrolled: 1-line block ×7, first 2 shown]
	ds_store_2addr_b32 v33, v0, v1 offset1:189
	ds_store_2addr_b32 v17, v5, v12 offset0:58 offset1:247
	ds_store_2addr_b32 v18, v2, v3 offset0:52 offset1:241
	ds_store_b32 v33, v4 offset:4536
	global_wb scope:SCOPE_SE
	s_wait_dscnt 0x0
	s_barrier_signal -1
	s_barrier_wait -1
	global_inv scope:SCOPE_SE
	ds_load_2addr_b32 v[3:4], v33 offset1:189
	s_wait_dscnt 0x0
	v_lshrrev_b32_e32 v2, 16, v3
	s_delay_alu instid0(VALU_DEP_1) | instskip(NEXT) | instid1(VALU_DEP_1)
	v_mul_f16_e32 v0, v46, v2
	v_fmac_f16_e32 v0, v45, v3
	v_mul_f16_e32 v3, v46, v3
	s_delay_alu instid0(VALU_DEP_2) | instskip(NEXT) | instid1(VALU_DEP_2)
	v_cvt_f32_f16_e32 v0, v0
	v_fma_f16 v2, v45, v2, -v3
	s_delay_alu instid0(VALU_DEP_2) | instskip(NEXT) | instid1(VALU_DEP_2)
	v_cvt_f64_f32_e32 v[0:1], v0
	v_cvt_f32_f16_e32 v2, v2
	s_delay_alu instid0(VALU_DEP_1) | instskip(SKIP_1) | instid1(VALU_DEP_3)
	v_cvt_f64_f32_e32 v[2:3], v2
	s_wait_alu 0xfffe
	v_mul_f64_e32 v[5:6], s[10:11], v[0:1]
	v_add_nc_u32_e32 v0, 0x600, v33
	ds_load_2addr_b32 v[0:1], v0 offset0:57 offset1:246
	v_mul_f64_e32 v[11:12], s[10:11], v[2:3]
	v_and_or_b32 v2, 0x1ff, v6, v5
	s_wait_dscnt 0x0
	v_lshrrev_b32_e32 v5, 16, v0
	v_lshrrev_b32_e32 v3, 8, v6
	v_bfe_u32 v7, v6, 20, 11
	v_cmp_ne_u32_e64 s0, 0, v2
	s_delay_alu instid0(VALU_DEP_4)
	v_mul_f16_e32 v13, v44, v5
	v_and_or_b32 v11, 0x1ff, v12, v11
	v_lshrrev_b32_e32 v16, 8, v12
	v_bfe_u32 v17, v12, 20, 11
	s_wait_alu 0xf1ff
	v_cndmask_b32_e64 v2, 0, 1, s0
	v_fmac_f16_e32 v13, v43, v0
	v_cmp_ne_u32_e64 s0, 0, v11
	v_mul_f16_e32 v0, v44, v0
	s_delay_alu instid0(VALU_DEP_4)
	v_and_or_b32 v19, 0xffe, v3, v2
	v_sub_nc_u32_e32 v2, 0x3f1, v7
	s_wait_alu 0xf1ff
	v_cndmask_b32_e64 v11, 0, 1, s0
	v_add_nc_u32_e32 v7, 0xfffffc10, v7
	v_fma_f16 v0, v43, v5, -v0
	v_or_b32_e32 v14, 0x1000, v19
	v_med3_i32 v15, v2, 0, 13
	v_cvt_f32_f16_e32 v2, v13
	v_and_or_b32 v11, 0xffe, v16, v11
	v_cvt_f32_f16_e32 v0, v0
	s_delay_alu instid0(VALU_DEP_4) | instskip(NEXT) | instid1(VALU_DEP_4)
	v_lshrrev_b32_e32 v13, v15, v14
	v_cvt_f64_f32_e32 v[2:3], v2
	s_delay_alu instid0(VALU_DEP_4) | instskip(NEXT) | instid1(VALU_DEP_3)
	v_or_b32_e32 v18, 0x1000, v11
	v_lshlrev_b32_e32 v15, v15, v13
	s_delay_alu instid0(VALU_DEP_1) | instskip(SKIP_2) | instid1(VALU_DEP_2)
	v_cmp_ne_u32_e64 s0, v15, v14
	v_sub_nc_u32_e32 v15, 0x3f1, v17
	s_wait_alu 0xf1ff
	v_cndmask_b32_e64 v14, 0, 1, s0
	v_cmp_gt_i32_e64 s0, 1, v7
	s_delay_alu instid0(VALU_DEP_3) | instskip(SKIP_1) | instid1(VALU_DEP_4)
	v_med3_i32 v5, v15, 0, 13
	v_mad_co_u64_u32 v[15:16], null, s6, v10, 0
	v_or_b32_e32 v13, v13, v14
	v_lshl_or_b32 v14, v7, 12, v19
	s_delay_alu instid0(VALU_DEP_4) | instskip(SKIP_1) | instid1(VALU_DEP_2)
	v_lshrrev_b32_e32 v21, v5, v18
	s_wait_alu 0xf1ff
	v_cndmask_b32_e64 v20, v14, v13, s0
	v_cvt_f64_f32_e32 v[13:14], v0
	s_delay_alu instid0(VALU_DEP_3) | instskip(SKIP_1) | instid1(VALU_DEP_4)
	v_lshlrev_b32_e32 v0, v5, v21
	v_add_nc_u32_e32 v5, 0xd00, v33
	v_and_b32_e32 v22, 7, v20
	v_lshrrev_b32_e32 v20, 2, v20
	s_delay_alu instid0(VALU_DEP_4) | instskip(NEXT) | instid1(VALU_DEP_3)
	v_cmp_ne_u32_e64 s2, v0, v18
	v_cmp_lt_i32_e64 s0, 5, v22
	v_cmp_eq_u32_e64 s1, 3, v22
	v_add_nc_u32_e32 v22, 0xfffffc10, v17
	v_mul_f64_e32 v[17:18], s[10:11], v[2:3]
	ds_load_2addr_b32 v[2:3], v5 offset0:50 offset1:239
	s_wait_alu 0xf1ff
	v_cndmask_b32_e64 v0, 0, 1, s2
	s_or_b32 s0, s1, s0
	s_wait_alu 0xfffe
	v_add_co_ci_u32_e64 v5, s0, 0, v20, s0
	v_cmp_ne_u32_e64 s0, 0, v19
	v_or_b32_e32 v0, v21, v0
	v_lshl_or_b32 v21, v22, 12, v11
	s_wait_alu 0xf1ff
	s_delay_alu instid0(VALU_DEP_3) | instskip(SKIP_1) | instid1(VALU_DEP_2)
	v_cndmask_b32_e64 v19, 0, 1, s0
	v_cmp_gt_i32_e64 s0, 1, v22
	v_lshl_or_b32 v19, v19, 9, 0x7c00
	s_wait_alu 0xf1ff
	s_delay_alu instid0(VALU_DEP_2)
	v_cndmask_b32_e64 v20, v21, v0, s0
	v_cmp_gt_i32_e64 s0, 31, v7
	v_mov_b32_e32 v0, v16
	s_wait_dscnt 0x0
	v_lshrrev_b32_e32 v21, 16, v2
	v_and_b32_e32 v16, 7, v20
	s_wait_alu 0xf1ff
	v_cndmask_b32_e64 v5, 0x7c00, v5, s0
	v_cmp_eq_u32_e64 s0, 0x40f, v7
	s_delay_alu instid0(VALU_DEP_3) | instskip(SKIP_1) | instid1(VALU_DEP_2)
	v_cmp_eq_u32_e64 s1, 3, v16
	s_wait_alu 0xf1ff
	v_cndmask_b32_e64 v7, v5, v19, s0
	v_cmp_lt_i32_e64 s0, 5, v16
	v_lshrrev_b32_e32 v19, 16, v6
	v_mad_co_u64_u32 v[5:6], null, s7, v10, v[0:1]
	v_lshrrev_b32_e32 v0, 2, v20
	s_delay_alu instid0(VALU_DEP_4)
	s_or_b32 s0, s1, s0
	v_mul_f16_e32 v10, v42, v21
	v_and_or_b32 v16, 0x8000, v19, v7
	v_mul_f64_e32 v[6:7], s[10:11], v[13:14]
	s_wait_alu 0xfffe
	v_add_co_ci_u32_e64 v0, s0, 0, v0, s0
	v_cmp_ne_u32_e64 s0, 0, v11
	v_and_or_b32 v13, 0x1ff, v18, v17
	v_fmac_f16_e32 v10, v41, v2
	v_lshrrev_b32_e32 v20, 8, v18
	v_bfe_u32 v23, v18, 20, 11
	s_wait_alu 0xf1ff
	v_cndmask_b32_e64 v11, 0, 1, s0
	v_cmp_gt_i32_e64 s0, 31, v22
	v_cvt_f32_f16_e32 v14, v10
	v_mul_f16_e32 v2, v42, v2
	v_lshrrev_b32_e32 v18, 16, v18
	v_lshl_or_b32 v17, v11, 9, 0x7c00
	s_wait_alu 0xf1ff
	v_cndmask_b32_e64 v0, 0x7c00, v0, s0
	v_cmp_ne_u32_e64 s0, 0, v13
	v_mad_co_u64_u32 v[10:11], null, s4, v40, 0
	v_cvt_f64_f32_e32 v[13:14], v14
	v_fma_f16 v2, v41, v21, -v2
	s_wait_alu 0xf1ff
	v_cndmask_b32_e64 v19, 0, 1, s0
	v_cmp_eq_u32_e64 s0, 0x40f, v22
	v_lshrrev_b32_e32 v22, 16, v12
	v_add_nc_u32_e32 v21, 0xfffffc10, v23
	v_cvt_f32_f16_e32 v2, v2
	v_and_or_b32 v19, 0xffe, v20, v19
	s_wait_alu 0xf1ff
	v_cndmask_b32_e64 v17, v0, v17, s0
	v_mov_b32_e32 v0, v11
	v_sub_nc_u32_e32 v20, 0x3f1, v23
	s_delay_alu instid0(VALU_DEP_3) | instskip(NEXT) | instid1(VALU_DEP_3)
	v_and_or_b32 v17, 0x8000, v22, v17
	v_mad_co_u64_u32 v[11:12], null, s5, v40, v[0:1]
	v_or_b32_e32 v0, 0x1000, v19
	s_delay_alu instid0(VALU_DEP_4) | instskip(SKIP_2) | instid1(VALU_DEP_3)
	v_med3_i32 v12, v20, 0, 13
	v_and_b32_e32 v20, 0xffff, v16
	v_mov_b32_e32 v16, v5
	v_lshrrev_b32_e32 v22, v12, v0
	s_delay_alu instid0(VALU_DEP_3)
	v_lshl_or_b32 v17, v17, 16, v20
	v_and_or_b32 v20, 0x1ff, v7, v6
	v_lshlrev_b64_e32 v[5:6], 2, v[10:11]
	v_lshrrev_b32_e32 v11, 8, v7
	v_lshlrev_b32_e32 v12, v12, v22
	v_lshlrev_b64_e32 v[15:16], 2, v[15:16]
	s_delay_alu instid0(VALU_DEP_2) | instskip(SKIP_1) | instid1(VALU_DEP_1)
	v_cmp_ne_u32_e64 s0, v12, v0
	s_wait_alu 0xf1ff
	v_cndmask_b32_e64 v0, 0, 1, s0
	v_cmp_ne_u32_e64 s0, 0, v20
	v_bfe_u32 v20, v7, 20, 11
	v_lshrrev_b32_e32 v7, 16, v7
	s_delay_alu instid0(VALU_DEP_4)
	v_or_b32_e32 v0, v22, v0
	s_wait_alu 0xf1ff
	v_cndmask_b32_e64 v10, 0, 1, s0
	v_add_co_u32 v15, s0, s8, v15
	v_sub_nc_u32_e32 v23, 0x3f1, v20
	s_wait_alu 0xf1ff
	v_add_co_ci_u32_e64 v16, s0, s9, v16, s0
	v_and_or_b32 v22, 0xffe, v11, v10
	v_mul_f64_e32 v[10:11], s[10:11], v[13:14]
	v_cvt_f64_f32_e32 v[12:13], v2
	v_lshl_or_b32 v14, v21, 12, v19
	v_cmp_gt_i32_e64 s0, 1, v21
	v_or_b32_e32 v2, 0x1000, v22
	v_med3_i32 v23, v23, 0, 13
	s_wait_alu 0xf1ff
	s_delay_alu instid0(VALU_DEP_3) | instskip(SKIP_1) | instid1(VALU_DEP_3)
	v_cndmask_b32_e64 v0, v14, v0, s0
	v_add_co_u32 v5, s0, v15, v5
	v_lshrrev_b32_e32 v14, v23, v2
	s_wait_alu 0xf1ff
	v_add_co_ci_u32_e64 v6, s0, v16, v6, s0
	v_and_b32_e32 v15, 7, v0
	v_lshrrev_b32_e32 v0, 2, v0
	v_lshlrev_b32_e32 v16, v23, v14
	global_store_b32 v[5:6], v17, off
	v_lshrrev_b32_e32 v17, 16, v4
	v_cmp_lt_i32_e64 s0, 5, v15
	v_cmp_eq_u32_e64 s1, 3, v15
	v_cmp_ne_u32_e64 s2, v16, v2
	v_add_nc_u32_e32 v16, 0xfffffc10, v20
	v_mul_f16_e32 v15, v39, v17
	s_delay_alu instid0(VALU_DEP_4) | instskip(NEXT) | instid1(VALU_DEP_3)
	s_or_b32 s0, s1, s0
	v_cndmask_b32_e64 v2, 0, 1, s2
	s_wait_alu 0xfffe
	v_add_co_ci_u32_e64 v0, s0, 0, v0, s0
	v_cmp_gt_i32_e64 s0, 31, v21
	v_fmac_f16_e32 v15, v38, v4
	v_or_b32_e32 v2, v14, v2
	v_lshl_or_b32 v14, v16, 12, v22
	v_cmp_eq_u32_e64 s2, 0x40f, v21
	s_wait_alu 0xf1ff
	v_cndmask_b32_e64 v0, 0x7c00, v0, s0
	v_cmp_gt_i32_e64 s0, 1, v16
	v_mul_f16_e32 v4, v39, v4
	v_and_or_b32 v10, 0x1ff, v11, v10
	v_mul_f64_e32 v[12:13], s[10:11], v[12:13]
	s_wait_alu 0xf1ff
	v_cndmask_b32_e64 v2, v14, v2, s0
	v_cmp_ne_u32_e64 s0, 0, v19
	v_cvt_f32_f16_e32 v14, v15
	v_lshrrev_b32_e32 v23, 8, v11
	v_bfe_u32 v24, v11, 20, 11
	v_and_b32_e32 v20, 7, v2
	s_wait_alu 0xf1ff
	v_cndmask_b32_e64 v19, 0, 1, s0
	v_cmp_ne_u32_e64 s0, 0, v10
	v_cvt_f64_f32_e32 v[14:15], v14
	v_lshrrev_b32_e32 v2, 2, v2
	v_cmp_eq_u32_e64 s1, 3, v20
	v_lshl_or_b32 v19, v19, 9, 0x7c00
	s_wait_alu 0xf1ff
	v_cndmask_b32_e64 v10, 0, 1, s0
	v_cmp_lt_i32_e64 s0, 5, v20
	v_sub_nc_u32_e32 v20, 0x3f1, v24
	v_fma_f16 v4, v38, v17, -v4
	v_cndmask_b32_e64 v0, v0, v19, s2
	v_and_or_b32 v10, 0xffe, v23, v10
	s_or_b32 s0, s1, s0
	v_med3_i32 v20, v20, 0, 13
	s_wait_alu 0xfffe
	v_add_co_ci_u32_e64 v2, s0, 0, v2, s0
	v_or_b32_e32 v19, 0x1000, v10
	v_cmp_ne_u32_e64 s0, 0, v22
	v_cvt_f32_f16_e32 v4, v4
	v_and_or_b32 v0, 0x8000, v18, v0
	v_add_nc_u32_e32 v18, 0xfffffc10, v24
	v_lshrrev_b32_e32 v22, v20, v19
	s_wait_alu 0xf1ff
	v_cndmask_b32_e64 v21, 0, 1, s0
	v_cmp_gt_i32_e64 s0, 31, v16
	v_and_b32_e32 v0, 0xffff, v0
	v_lshrrev_b32_e32 v11, 16, v11
	v_lshlrev_b32_e32 v20, v20, v22
	v_lshl_or_b32 v21, v21, 9, 0x7c00
	s_wait_alu 0xf1ff
	v_cndmask_b32_e64 v2, 0x7c00, v2, s0
	v_cmp_eq_u32_e64 s0, 0x40f, v16
	v_and_or_b32 v12, 0x1ff, v13, v12
	s_wait_alu 0xf1ff
	s_delay_alu instid0(VALU_DEP_2) | instskip(SKIP_3) | instid1(VALU_DEP_4)
	v_cndmask_b32_e64 v2, v2, v21, s0
	v_cmp_ne_u32_e64 s0, v20, v19
	v_lshrrev_b32_e32 v21, 8, v13
	v_lshl_or_b32 v20, v18, 12, v10
	v_and_or_b32 v2, 0x8000, v7, v2
	s_wait_alu 0xf1ff
	v_cndmask_b32_e64 v16, 0, 1, s0
	v_cmp_ne_u32_e64 s0, 0, v12
	v_mul_f64_e32 v[14:15], s[10:11], v[14:15]
	v_lshl_or_b32 v23, v2, 16, v0
	s_delay_alu instid0(VALU_DEP_4)
	v_or_b32_e32 v19, v22, v16
	v_cvt_f64_f32_e32 v[16:17], v4
	s_wait_alu 0xf1ff
	v_cndmask_b32_e64 v12, 0, 1, s0
	v_bfe_u32 v22, v13, 20, 11
	v_cmp_gt_i32_e64 s0, 1, v18
	v_lshrrev_b32_e32 v2, 16, v1
	v_lshrrev_b32_e32 v13, 16, v13
	v_and_or_b32 v12, 0xffe, v21, v12
	v_sub_nc_u32_e32 v4, 0x3f1, v22
	s_wait_alu 0xf1ff
	v_cndmask_b32_e64 v7, v20, v19, s0
	s_mul_u64 s[0:1], s[4:5], 0x1b9
	v_or_b32_e32 v20, 0x1000, v12
	v_med3_i32 v21, v4, 0, 13
	s_delay_alu instid0(VALU_DEP_3)
	v_and_b32_e32 v19, 7, v7
	s_wait_alu 0xfffe
	s_lshl_b64 s[12:13], s[0:1], 2
	s_wait_alu 0xfffe
	v_add_co_u32 v4, s2, v5, s12
	v_lshrrev_b32_e32 v0, v21, v20
	v_cmp_lt_i32_e64 s0, 5, v19
	v_cmp_eq_u32_e64 s1, 3, v19
	s_wait_alu 0xf1ff
	v_add_co_ci_u32_e64 v5, s2, s13, v6, s2
	v_lshrrev_b32_e32 v6, 2, v7
	v_lshlrev_b32_e32 v7, v21, v0
	s_or_b32 s0, s1, s0
	v_mul_f16_e32 v19, v37, v2
	v_cmp_eq_u32_e64 s2, 0x40f, v18
	s_wait_alu 0xfffe
	v_add_co_ci_u32_e64 v21, s0, 0, v6, s0
	v_cmp_ne_u32_e64 s0, v7, v20
	v_add_nc_u32_e32 v20, 0xfffffc10, v22
	v_fmac_f16_e32 v19, v36, v1
	v_mul_f16_e32 v1, v37, v1
	v_and_or_b32 v14, 0x1ff, v15, v14
	s_wait_alu 0xf1ff
	v_cndmask_b32_e64 v6, 0, 1, s0
	v_cmp_ne_u32_e64 s0, 0, v10
	v_lshl_or_b32 v22, v20, 12, v12
	v_cvt_f32_f16_e32 v19, v19
	v_fma_f16 v1, v36, v2, -v1
	v_or_b32_e32 v0, v0, v6
	s_wait_alu 0xf1ff
	v_cndmask_b32_e64 v10, 0, 1, s0
	v_cmp_gt_i32_e64 s0, 1, v20
	v_mul_f64_e32 v[6:7], s[10:11], v[16:17]
	v_cvt_f64_f32_e32 v[16:17], v19
	v_lshrrev_b32_e32 v19, 8, v15
	v_lshl_or_b32 v10, v10, 9, 0x7c00
	s_wait_alu 0xf1ff
	v_cndmask_b32_e64 v0, v22, v0, s0
	v_cmp_ne_u32_e64 s0, 0, v14
	v_bfe_u32 v22, v15, 20, 11
	v_cvt_f32_f16_e32 v1, v1
	v_lshrrev_b32_e32 v15, 16, v15
	v_and_b32_e32 v24, 7, v0
	s_wait_alu 0xf1ff
	v_cndmask_b32_e64 v14, 0, 1, s0
	v_cmp_gt_i32_e64 s0, 31, v18
	v_lshrrev_b32_e32 v0, 2, v0
	v_cmp_eq_u32_e64 s1, 3, v24
	s_delay_alu instid0(VALU_DEP_4)
	v_and_or_b32 v14, 0xffe, v19, v14
	v_sub_nc_u32_e32 v19, 0x3f1, v22
	s_wait_alu 0xf1ff
	v_cndmask_b32_e64 v21, 0x7c00, v21, s0
	v_cmp_lt_i32_e64 s0, 5, v24
	v_or_b32_e32 v24, 0x1000, v14
	v_med3_i32 v19, v19, 0, 13
	s_delay_alu instid0(VALU_DEP_4) | instskip(NEXT) | instid1(VALU_DEP_4)
	v_cndmask_b32_e64 v10, v21, v10, s2
	s_or_b32 s0, s1, s0
	s_wait_alu 0xfffe
	v_add_co_ci_u32_e64 v0, s0, 0, v0, s0
	v_lshrrev_b32_e32 v18, v19, v24
	v_cmp_ne_u32_e64 s0, 0, v12
	v_and_or_b32 v21, 0x8000, v11, v10
	s_delay_alu instid0(VALU_DEP_3) | instskip(SKIP_1) | instid1(VALU_DEP_3)
	v_lshlrev_b32_e32 v19, v19, v18
	s_wait_alu 0xf1ff
	v_cndmask_b32_e64 v12, 0, 1, s0
	v_cmp_gt_i32_e64 s0, 31, v20
	s_delay_alu instid0(VALU_DEP_2) | instskip(SKIP_1) | instid1(VALU_DEP_2)
	v_lshl_or_b32 v10, v12, 9, 0x7c00
	s_wait_alu 0xf1ff
	v_cndmask_b32_e64 v0, 0x7c00, v0, s0
	v_cmp_ne_u32_e64 s0, v19, v24
	v_and_or_b32 v6, 0x1ff, v7, v6
	v_add_nc_u32_e32 v19, 0xfffffc10, v22
	v_lshrrev_b32_e32 v22, 16, v3
	s_wait_alu 0xf1ff
	v_cndmask_b32_e64 v11, 0, 1, s0
	v_cmp_eq_u32_e64 s0, 0x40f, v20
	v_and_b32_e32 v20, 0xffff, v21
	v_cmp_eq_u32_e64 s2, 0x40f, v19
	s_delay_alu instid0(VALU_DEP_4)
	v_or_b32_e32 v12, v18, v11
	s_wait_alu 0xf1ff
	v_cndmask_b32_e64 v0, v0, v10, s0
	v_cmp_ne_u32_e64 s0, 0, v6
	v_lshl_or_b32 v18, v19, 12, v14
	v_mul_f64_e32 v[10:11], s[10:11], v[16:17]
	v_lshrrev_b32_e32 v16, 8, v7
	v_bfe_u32 v17, v7, 20, 11
	s_wait_alu 0xf1ff
	v_cndmask_b32_e64 v6, 0, 1, s0
	v_cmp_gt_i32_e64 s0, 1, v19
	v_and_or_b32 v13, 0x8000, v13, v0
	v_cvt_f64_f32_e32 v[0:1], v1
	s_delay_alu instid0(VALU_DEP_4)
	v_and_or_b32 v6, 0xffe, v16, v6
	s_wait_alu 0xf1ff
	v_cndmask_b32_e64 v2, v18, v12, s0
	v_sub_nc_u32_e32 v12, 0x3f1, v17
	v_add_nc_u32_e32 v17, 0xfffffc10, v17
	v_or_b32_e32 v18, 0x1000, v6
	s_delay_alu instid0(VALU_DEP_4) | instskip(NEXT) | instid1(VALU_DEP_4)
	v_and_b32_e32 v16, 7, v2
	v_med3_i32 v12, v12, 0, 13
	v_lshrrev_b32_e32 v2, 2, v2
	s_delay_alu instid0(VALU_DEP_3) | instskip(NEXT) | instid1(VALU_DEP_3)
	v_cmp_lt_i32_e64 s0, 5, v16
	v_lshrrev_b32_e32 v21, v12, v18
	v_cmp_eq_u32_e64 s1, 3, v16
	v_lshl_or_b32 v16, v13, 16, v20
	v_mul_f16_e32 v13, v35, v22
	v_lshl_or_b32 v20, v17, 12, v6
	v_lshlrev_b32_e32 v12, v12, v21
	s_or_b32 s0, s1, s0
	s_wait_alu 0xfffe
	v_add_co_ci_u32_e64 v2, s0, 0, v2, s0
	s_delay_alu instid0(VALU_DEP_2) | instskip(SKIP_3) | instid1(VALU_DEP_3)
	v_cmp_ne_u32_e64 s0, v12, v18
	v_fmac_f16_e32 v13, v34, v3
	v_mul_f16_e32 v3, v35, v3
	s_wait_alu 0xf1ff
	v_cndmask_b32_e64 v12, 0, 1, s0
	v_cmp_gt_i32_e64 s0, 31, v19
	s_delay_alu instid0(VALU_DEP_3) | instskip(SKIP_2) | instid1(VALU_DEP_3)
	v_fma_f16 v3, v34, v22, -v3
	v_and_or_b32 v10, 0x1ff, v11, v10
	s_wait_alu 0xf1ff
	v_cndmask_b32_e64 v18, 0x7c00, v2, s0
	v_or_b32_e32 v2, v21, v12
	v_cvt_f32_f16_e32 v12, v13
	v_cmp_ne_u32_e64 s0, 0, v14
	v_bfe_u32 v21, v11, 20, 11
	v_mul_f64_e32 v[0:1], s[10:11], v[0:1]
	v_cvt_f32_f16_e32 v3, v3
	v_cvt_f64_f32_e32 v[12:13], v12
	s_wait_alu 0xf1ff
	v_cndmask_b32_e64 v14, 0, 1, s0
	v_cmp_gt_i32_e64 s0, 1, v17
	s_delay_alu instid0(VALU_DEP_2) | instskip(SKIP_1) | instid1(VALU_DEP_2)
	v_lshl_or_b32 v14, v14, 9, 0x7c00
	s_wait_alu 0xf1ff
	v_cndmask_b32_e64 v2, v20, v2, s0
	v_cmp_ne_u32_e64 s0, 0, v10
	v_lshrrev_b32_e32 v20, 8, v11
	v_lshrrev_b32_e32 v11, 16, v11
	v_cndmask_b32_e64 v14, v18, v14, s2
	v_and_b32_e32 v24, 7, v2
	s_wait_alu 0xf1ff
	v_cndmask_b32_e64 v10, 0, 1, s0
	s_movk_i32 s2, 0xfd4b
	s_mov_b32 s3, -1
	v_and_or_b32 v14, 0x8000, v15, v14
	v_cmp_lt_i32_e64 s0, 5, v24
	v_and_or_b32 v10, 0xffe, v20, v10
	v_sub_nc_u32_e32 v20, 0x3f1, v21
	v_cmp_eq_u32_e64 s1, 3, v24
	v_lshrrev_b32_e32 v24, 2, v2
	v_cvt_f64_f32_e32 v[2:3], v3
	v_or_b32_e32 v22, 0x1000, v10
	v_med3_i32 v20, v20, 0, 13
	s_or_b32 s0, s1, s0
	v_add_nc_u32_e32 v21, 0xfffffc10, v21
	s_wait_alu 0xfffe
	v_add_co_ci_u32_e64 v19, s0, 0, v24, s0
	v_lshrrev_b32_e32 v18, v20, v22
	v_cmp_ne_u32_e64 s0, 0, v6
	v_and_b32_e32 v14, 0xffff, v14
	s_mul_u64 s[2:3], s[4:5], s[2:3]
	s_delay_alu instid0(VALU_DEP_3) | instskip(NEXT) | instid1(VALU_DEP_3)
	v_lshlrev_b32_e32 v20, v20, v18
	v_cndmask_b32_e64 v6, 0, 1, s0
	v_cmp_gt_i32_e64 s0, 31, v17
	v_and_or_b32 v0, 0x1ff, v1, v0
	v_mul_f64_e32 v[12:13], s[10:11], v[12:13]
	s_wait_alu 0xfffe
	s_lshl_b64 s[4:5], s[2:3], 2
	v_lshl_or_b32 v6, v6, 9, 0x7c00
	v_cndmask_b32_e64 v19, 0x7c00, v19, s0
	v_cmp_ne_u32_e64 s0, v20, v22
	s_wait_alu 0xf1ff
	s_delay_alu instid0(VALU_DEP_1) | instskip(SKIP_1) | instid1(VALU_DEP_2)
	v_cndmask_b32_e64 v20, 0, 1, s0
	v_cmp_eq_u32_e64 s0, 0x40f, v17
	v_or_b32_e32 v18, v18, v20
	s_wait_alu 0xf1ff
	s_delay_alu instid0(VALU_DEP_2)
	v_cndmask_b32_e64 v17, v19, v6, s0
	v_add_co_u32 v6, s0, v4, s12
	v_lshrrev_b32_e32 v19, 16, v7
	s_wait_alu 0xf1ff
	v_add_co_ci_u32_e64 v7, s0, s13, v5, s0
	v_lshl_or_b32 v20, v21, 12, v10
	v_cmp_gt_i32_e64 s0, 1, v21
	v_and_or_b32 v15, 0x8000, v19, v17
	v_lshrrev_b32_e32 v19, 8, v1
	v_mul_f64_e32 v[2:3], s[10:11], v[2:3]
	s_wait_alu 0xf1ff
	v_cndmask_b32_e64 v17, v20, v18, s0
	v_cmp_ne_u32_e64 s0, 0, v0
	v_bfe_u32 v20, v1, 20, 11
	v_lshl_or_b32 v14, v15, 16, v14
	v_lshrrev_b32_e32 v1, 16, v1
	v_and_b32_e32 v18, 7, v17
	s_wait_alu 0xf1ff
	v_cndmask_b32_e64 v0, 0, 1, s0
	v_lshrrev_b32_e32 v17, 2, v17
	v_sub_nc_u32_e32 v15, 0x3f1, v20
	v_cmp_lt_i32_e64 s0, 5, v18
	v_cmp_eq_u32_e64 s1, 3, v18
	v_and_or_b32 v0, 0xffe, v19, v0
	s_delay_alu instid0(VALU_DEP_4)
	v_med3_i32 v15, v15, 0, 13
	v_and_or_b32 v12, 0x1ff, v13, v12
	v_lshrrev_b32_e32 v22, 8, v13
	s_or_b32 s0, s1, s0
	v_or_b32_e32 v18, 0x1000, v0
	s_wait_alu 0xfffe
	v_add_co_ci_u32_e64 v17, s0, 0, v17, s0
	v_cmp_ne_u32_e64 s0, 0, v10
	v_bfe_u32 v24, v13, 20, 11
	v_lshrrev_b32_e32 v19, v15, v18
	v_lshrrev_b32_e32 v13, 16, v13
	s_wait_alu 0xf1ff
	v_cndmask_b32_e64 v10, 0, 1, s0
	v_cmp_gt_i32_e64 s0, 31, v21
	v_lshlrev_b32_e32 v15, v15, v19
	s_delay_alu instid0(VALU_DEP_3) | instskip(SKIP_1) | instid1(VALU_DEP_3)
	v_lshl_or_b32 v10, v10, 9, 0x7c00
	s_wait_alu 0xf1ff
	v_cndmask_b32_e64 v17, 0x7c00, v17, s0
	v_cmp_ne_u32_e64 s0, 0, v12
	v_and_or_b32 v2, 0x1ff, v3, v2
	s_wait_alu 0xf1ff
	s_delay_alu instid0(VALU_DEP_2) | instskip(SKIP_3) | instid1(VALU_DEP_4)
	v_cndmask_b32_e64 v12, 0, 1, s0
	v_cmp_ne_u32_e64 s0, v15, v18
	v_add_nc_u32_e32 v18, 0xfffffc10, v20
	v_sub_nc_u32_e32 v20, 0x3f1, v24
	v_and_or_b32 v12, 0xffe, v22, v12
	s_wait_alu 0xf1ff
	v_cndmask_b32_e64 v15, 0, 1, s0
	v_cmp_eq_u32_e64 s0, 0x40f, v21
	v_med3_i32 v20, v20, 0, 13
	v_lshrrev_b32_e32 v21, 8, v3
	v_bfe_u32 v22, v3, 20, 11
	v_or_b32_e32 v15, v19, v15
	s_wait_alu 0xf1ff
	v_cndmask_b32_e64 v10, v17, v10, s0
	v_lshl_or_b32 v17, v18, 12, v0
	v_or_b32_e32 v19, 0x1000, v12
	v_cmp_gt_i32_e64 s0, 1, v18
	s_delay_alu instid0(VALU_DEP_4) | instskip(SKIP_2) | instid1(VALU_DEP_3)
	v_and_or_b32 v10, 0x8000, v11, v10
	v_sub_nc_u32_e32 v11, 0x3f1, v22
	s_wait_alu 0xf1ff
	v_cndmask_b32_e64 v15, v17, v15, s0
	v_lshrrev_b32_e32 v17, v20, v19
	v_cmp_ne_u32_e64 s0, 0, v2
	v_med3_i32 v11, v11, 0, 13
	s_delay_alu instid0(VALU_DEP_4) | instskip(NEXT) | instid1(VALU_DEP_4)
	v_and_b32_e32 v25, 7, v15
	v_lshlrev_b32_e32 v20, v20, v17
	s_wait_alu 0xf1ff
	v_cndmask_b32_e64 v2, 0, 1, s0
	v_lshrrev_b32_e32 v15, 2, v15
	v_cmp_lt_i32_e64 s0, 5, v25
	v_cmp_ne_u32_e64 s1, v20, v19
	s_delay_alu instid0(VALU_DEP_4) | instskip(SKIP_2) | instid1(VALU_DEP_3)
	v_and_or_b32 v2, 0xffe, v21, v2
	v_add_nc_u32_e32 v21, 0xfffffc10, v24
	s_wait_alu 0xf1ff
	v_cndmask_b32_e64 v19, 0, 1, s1
	v_cmp_eq_u32_e64 s1, 3, v25
	v_or_b32_e32 v20, 0x1000, v2
	v_lshl_or_b32 v24, v21, 12, v12
	s_delay_alu instid0(VALU_DEP_4) | instskip(NEXT) | instid1(VALU_DEP_4)
	v_or_b32_e32 v17, v17, v19
	s_or_b32 s0, s1, s0
	s_delay_alu instid0(VALU_DEP_3) | instskip(SKIP_3) | instid1(VALU_DEP_3)
	v_lshrrev_b32_e32 v19, v11, v20
	s_wait_alu 0xfffe
	v_add_co_ci_u32_e64 v15, s0, 0, v15, s0
	v_cmp_gt_i32_e64 s0, 1, v21
	v_lshlrev_b32_e32 v11, v11, v19
	s_wait_alu 0xf1ff
	s_delay_alu instid0(VALU_DEP_2) | instskip(SKIP_2) | instid1(VALU_DEP_1)
	v_cndmask_b32_e64 v17, v24, v17, s0
	v_cmp_ne_u32_e64 s0, 0, v0
	s_wait_alu 0xf1ff
	v_cndmask_b32_e64 v0, 0, 1, s0
	v_cmp_ne_u32_e64 s0, v11, v20
	v_add_nc_u32_e32 v20, 0xfffffc10, v22
	v_and_b32_e32 v22, 7, v17
	s_delay_alu instid0(VALU_DEP_4)
	v_lshl_or_b32 v0, v0, 9, 0x7c00
	s_wait_alu 0xf1ff
	v_cndmask_b32_e64 v11, 0, 1, s0
	v_cmp_gt_i32_e64 s0, 31, v18
	v_cmp_gt_i32_e64 s2, 1, v20
	v_cmp_eq_u32_e64 s1, 3, v22
	s_delay_alu instid0(VALU_DEP_4) | instskip(SKIP_4) | instid1(VALU_DEP_3)
	v_or_b32_e32 v11, v19, v11
	v_lshl_or_b32 v19, v20, 12, v2
	s_wait_alu 0xf1ff
	v_cndmask_b32_e64 v15, 0x7c00, v15, s0
	v_cmp_lt_i32_e64 s0, 5, v22
	v_cndmask_b32_e64 v11, v19, v11, s2
	v_cmp_eq_u32_e64 s2, 0x40f, v18
	s_delay_alu instid0(VALU_DEP_3) | instskip(NEXT) | instid1(VALU_DEP_1)
	s_or_b32 s0, s1, s0
	v_cndmask_b32_e64 v0, v15, v0, s2
	v_lshrrev_b32_e32 v15, 2, v17
	v_and_b32_e32 v17, 7, v11
	v_lshrrev_b32_e32 v11, 2, v11
	v_cmp_gt_i32_e64 s2, 31, v21
	v_and_or_b32 v0, 0x8000, v1, v0
	s_wait_alu 0xfffe
	v_add_co_ci_u32_e64 v15, s0, 0, v15, s0
	v_cmp_ne_u32_e64 s0, 0, v12
	v_cmp_eq_u32_e64 s1, 3, v17
	v_and_b32_e32 v1, 0xffff, v10
	s_wait_alu 0xf1ff
	v_cndmask_b32_e64 v15, 0x7c00, v15, s2
	v_cndmask_b32_e64 v12, 0, 1, s0
	v_cmp_lt_i32_e64 s0, 5, v17
	s_delay_alu instid0(VALU_DEP_2) | instskip(NEXT) | instid1(VALU_DEP_2)
	v_lshl_or_b32 v12, v12, 9, 0x7c00
	s_or_b32 s0, s1, s0
	s_wait_alu 0xfffe
	v_add_co_ci_u32_e64 v11, s0, 0, v11, s0
	v_cmp_ne_u32_e64 s0, 0, v2
	s_wait_alu 0xf1ff
	s_delay_alu instid0(VALU_DEP_1) | instskip(SKIP_1) | instid1(VALU_DEP_2)
	v_cndmask_b32_e64 v2, 0, 1, s0
	v_cmp_eq_u32_e64 s0, 0x40f, v21
	v_lshl_or_b32 v2, v2, 9, 0x7c00
	s_wait_alu 0xf1ff
	s_delay_alu instid0(VALU_DEP_2) | instskip(SKIP_1) | instid1(VALU_DEP_2)
	v_cndmask_b32_e64 v12, v15, v12, s0
	v_cmp_gt_i32_e64 s0, 31, v20
	v_and_or_b32 v10, 0x8000, v13, v12
	s_wait_alu 0xf1ff
	s_delay_alu instid0(VALU_DEP_2)
	v_cndmask_b32_e64 v11, 0x7c00, v11, s0
	v_cmp_eq_u32_e64 s0, 0x40f, v20
	v_lshrrev_b32_e32 v12, 16, v3
	v_lshl_or_b32 v13, v0, 16, v1
	v_and_b32_e32 v1, 0xffff, v10
	s_wait_alu 0xf1ff
	v_cndmask_b32_e64 v11, v11, v2, s0
	v_add_co_u32 v2, s0, v6, s4
	s_wait_alu 0xf1ff
	v_add_co_ci_u32_e64 v3, s0, s5, v7, s0
	s_delay_alu instid0(VALU_DEP_3) | instskip(NEXT) | instid1(VALU_DEP_3)
	v_and_or_b32 v0, 0x8000, v12, v11
	v_add_co_u32 v10, s0, v2, s12
	s_wait_alu 0xf1ff
	s_delay_alu instid0(VALU_DEP_3) | instskip(NEXT) | instid1(VALU_DEP_3)
	v_add_co_ci_u32_e64 v11, s0, s13, v3, s0
	v_lshl_or_b32 v12, v0, 16, v1
	s_delay_alu instid0(VALU_DEP_3) | instskip(SKIP_1) | instid1(VALU_DEP_3)
	v_add_co_u32 v0, s0, v10, s12
	s_wait_alu 0xf1ff
	v_add_co_ci_u32_e64 v1, s0, s13, v11, s0
	s_clause 0x3
	global_store_b32 v[4:5], v23, off
	global_store_b32 v[6:7], v16, off
	;; [unrolled: 1-line block ×5, first 2 shown]
	s_and_b32 exec_lo, exec_lo, vcc_lo
	s_cbranch_execz .LBB0_31
; %bb.30:
	s_clause 0x2
	global_load_b32 v2, v[8:9], off offset:1512
	global_load_b32 v4, v[8:9], off offset:3276
	;; [unrolled: 1-line block ×3, first 2 shown]
	ds_load_b32 v3, v33 offset:1512
	ds_load_b32 v5, v33 offset:3276
	;; [unrolled: 1-line block ×3, first 2 shown]
	v_add_co_u32 v0, vcc_lo, v0, s4
	s_wait_alu 0xfffd
	v_add_co_ci_u32_e32 v1, vcc_lo, s5, v1, vcc_lo
	s_wait_dscnt 0x2
	v_lshrrev_b32_e32 v7, 16, v3
	s_wait_dscnt 0x1
	v_lshrrev_b32_e32 v11, 16, v5
	;; [unrolled: 2-line block ×3, first 2 shown]
	s_wait_loadcnt 0x2
	v_lshrrev_b32_e32 v9, 16, v2
	s_wait_loadcnt 0x1
	v_lshrrev_b32_e32 v12, 16, v4
	s_delay_alu instid0(VALU_DEP_2) | instskip(SKIP_1) | instid1(VALU_DEP_3)
	v_mul_f16_e32 v10, v7, v9
	v_mul_f16_e32 v9, v3, v9
	;; [unrolled: 1-line block ×3, first 2 shown]
	s_delay_alu instid0(VALU_DEP_3) | instskip(NEXT) | instid1(VALU_DEP_3)
	v_fmac_f16_e32 v10, v3, v2
	v_fma_f16 v2, v2, v7, -v9
	s_wait_loadcnt 0x0
	v_lshrrev_b32_e32 v7, 16, v8
	v_mul_f16_e32 v9, v5, v12
	v_fmac_f16_e32 v14, v5, v4
	v_cvt_f32_f16_e32 v3, v10
	v_cvt_f32_f16_e32 v5, v2
	v_mul_f16_e32 v10, v13, v7
	v_fma_f16 v9, v4, v11, -v9
	v_cvt_f32_f16_e32 v11, v14
	v_cvt_f64_f32_e32 v[2:3], v3
	v_cvt_f64_f32_e32 v[4:5], v5
	v_mul_f16_e32 v12, v6, v7
	v_fmac_f16_e32 v10, v6, v8
	v_cvt_f32_f16_e32 v9, v9
	v_cvt_f64_f32_e32 v[6:7], v11
	v_add_co_u32 v14, vcc_lo, v0, s12
	v_fma_f16 v11, v8, v13, -v12
	v_cvt_f32_f16_e32 v10, v10
	v_cvt_f64_f32_e32 v[8:9], v9
	s_wait_alu 0xfffd
	v_add_co_ci_u32_e32 v15, vcc_lo, s13, v1, vcc_lo
	v_cvt_f32_f16_e32 v12, v11
	v_cvt_f64_f32_e32 v[10:11], v10
	s_delay_alu instid0(VALU_DEP_2)
	v_cvt_f64_f32_e32 v[12:13], v12
	v_mul_f64_e32 v[2:3], s[10:11], v[2:3]
	v_mul_f64_e32 v[4:5], s[10:11], v[4:5]
	;; [unrolled: 1-line block ×6, first 2 shown]
	v_and_or_b32 v2, 0x1ff, v3, v2
	v_and_or_b32 v4, 0x1ff, v5, v4
	v_lshrrev_b32_e32 v16, 8, v3
	v_bfe_u32 v17, v3, 20, 11
	v_lshrrev_b32_e32 v18, 8, v5
	v_cmp_ne_u32_e32 vcc_lo, 0, v2
	v_and_or_b32 v6, 0x1ff, v7, v6
	v_bfe_u32 v19, v5, 20, 11
	v_lshrrev_b32_e32 v20, 8, v7
	v_bfe_u32 v21, v7, 20, 11
	s_wait_alu 0xfffd
	v_cndmask_b32_e64 v2, 0, 1, vcc_lo
	v_cmp_ne_u32_e32 vcc_lo, 0, v4
	v_and_or_b32 v8, 0x1ff, v9, v8
	v_bfe_u32 v23, v9, 20, 11
	v_and_or_b32 v10, 0x1ff, v11, v10
	v_and_or_b32 v2, 0xffe, v16, v2
	s_wait_alu 0xfffd
	v_cndmask_b32_e64 v4, 0, 1, vcc_lo
	v_cmp_ne_u32_e32 vcc_lo, 0, v6
	v_and_or_b32 v12, 0x1ff, v13, v12
	v_sub_nc_u32_e32 v28, 0x3f1, v17
	v_add_nc_u32_e32 v17, 0xfffffc10, v17
	v_sub_nc_u32_e32 v29, 0x3f1, v19
	s_wait_alu 0xfffd
	v_cndmask_b32_e64 v6, 0, 1, vcc_lo
	v_cmp_ne_u32_e32 vcc_lo, 0, v8
	v_and_or_b32 v4, 0xffe, v18, v4
	v_lshrrev_b32_e32 v22, 8, v9
	v_bfe_u32 v25, v11, 20, 11
	v_bfe_u32 v27, v13, 20, 11
	s_wait_alu 0xfffd
	v_cndmask_b32_e64 v8, 0, 1, vcc_lo
	v_cmp_ne_u32_e32 vcc_lo, 0, v10
	v_add_nc_u32_e32 v19, 0xfffffc10, v19
	v_sub_nc_u32_e32 v30, 0x3f1, v21
	v_sub_nc_u32_e32 v31, 0x3f1, v23
	v_med3_i32 v16, v28, 0, 13
	s_wait_alu 0xfffd
	v_cndmask_b32_e64 v10, 0, 1, vcc_lo
	v_cmp_ne_u32_e32 vcc_lo, 0, v12
	v_med3_i32 v18, v29, 0, 13
	v_and_or_b32 v6, 0xffe, v20, v6
	v_or_b32_e32 v28, 0x1000, v2
	v_lshl_or_b32 v29, v17, 12, v2
	s_wait_alu 0xfffd
	v_cndmask_b32_e64 v12, 0, 1, vcc_lo
	v_cmp_ne_u32_e32 vcc_lo, 0, v2
	v_lshrrev_b32_e32 v24, 8, v11
	v_lshrrev_b32_e32 v26, 8, v13
	v_add_nc_u32_e32 v21, 0xfffffc10, v21
	v_sub_nc_u32_e32 v32, 0x3f1, v25
	s_wait_alu 0xfffd
	v_cndmask_b32_e64 v2, 0, 1, vcc_lo
	v_cmp_ne_u32_e32 vcc_lo, 0, v4
	v_sub_nc_u32_e32 v33, 0x3f1, v27
	v_med3_i32 v20, v30, 0, 13
	v_and_or_b32 v8, 0xffe, v22, v8
	v_med3_i32 v22, v31, 0, 13
	v_or_b32_e32 v30, 0x1000, v4
	v_lshl_or_b32 v31, v19, 12, v4
	s_wait_alu 0xfffd
	v_cndmask_b32_e64 v4, 0, 1, vcc_lo
	v_cmp_ne_u32_e32 vcc_lo, 0, v6
	v_add_nc_u32_e32 v23, 0xfffffc10, v23
	v_and_or_b32 v10, 0xffe, v24, v10
	v_med3_i32 v24, v32, 0, 13
	v_and_or_b32 v12, 0xffe, v26, v12
	v_med3_i32 v26, v33, 0, 13
	v_or_b32_e32 v32, 0x1000, v6
	v_lshl_or_b32 v33, v21, 12, v6
	s_wait_alu 0xfffd
	v_cndmask_b32_e64 v6, 0, 1, vcc_lo
	v_cmp_ne_u32_e32 vcc_lo, 0, v8
	v_add_nc_u32_e32 v25, 0xfffffc10, v25
	v_or_b32_e32 v34, 0x1000, v8
	v_lshl_or_b32 v35, v23, 12, v8
	v_lshrrev_b32_e32 v40, v16, v28
	s_wait_alu 0xfffd
	v_cndmask_b32_e64 v8, 0, 1, vcc_lo
	v_cmp_ne_u32_e32 vcc_lo, 0, v10
	v_add_nc_u32_e32 v27, 0xfffffc10, v27
	v_or_b32_e32 v36, 0x1000, v10
	v_lshl_or_b32 v37, v25, 12, v10
	v_lshrrev_b32_e32 v41, v18, v30
	s_wait_alu 0xfffd
	v_cndmask_b32_e64 v10, 0, 1, vcc_lo
	v_cmp_ne_u32_e32 vcc_lo, 0, v12
	v_lshlrev_b32_e32 v16, v16, v40
	v_or_b32_e32 v38, 0x1000, v12
	v_lshl_or_b32 v39, v27, 12, v12
	v_lshrrev_b32_e32 v42, v20, v32
	s_wait_alu 0xfffd
	v_cndmask_b32_e64 v12, 0, 1, vcc_lo
	v_lshlrev_b32_e32 v18, v18, v41
	v_cmp_ne_u32_e32 vcc_lo, v16, v28
	v_lshrrev_b32_e32 v43, v22, v34
	v_lshlrev_b32_e32 v20, v20, v42
	v_lshrrev_b32_e32 v44, v24, v36
	v_lshrrev_b32_e32 v45, v26, v38
	s_wait_alu 0xfffd
	v_cndmask_b32_e64 v16, 0, 1, vcc_lo
	v_cmp_ne_u32_e32 vcc_lo, v18, v30
	v_lshlrev_b32_e32 v22, v22, v43
	v_lshlrev_b32_e32 v24, v24, v44
	;; [unrolled: 1-line block ×3, first 2 shown]
	v_or_b32_e32 v16, v40, v16
	s_wait_alu 0xfffd
	v_cndmask_b32_e64 v18, 0, 1, vcc_lo
	v_cmp_ne_u32_e32 vcc_lo, v20, v32
	v_lshl_or_b32 v2, v2, 9, 0x7c00
	v_lshl_or_b32 v4, v4, 9, 0x7c00
	v_lshl_or_b32 v6, v6, 9, 0x7c00
	v_or_b32_e32 v18, v41, v18
	s_wait_alu 0xfffd
	v_cndmask_b32_e64 v20, 0, 1, vcc_lo
	v_cmp_ne_u32_e32 vcc_lo, v22, v34
	v_lshl_or_b32 v8, v8, 9, 0x7c00
	v_lshl_or_b32 v10, v10, 9, 0x7c00
	v_lshrrev_b32_e32 v3, 16, v3
	v_or_b32_e32 v20, v42, v20
	s_wait_alu 0xfffd
	v_cndmask_b32_e64 v22, 0, 1, vcc_lo
	v_cmp_ne_u32_e32 vcc_lo, v24, v36
	v_lshrrev_b32_e32 v7, 16, v7
	v_lshrrev_b32_e32 v5, 16, v5
	;; [unrolled: 1-line block ×3, first 2 shown]
	v_or_b32_e32 v22, v43, v22
	s_wait_alu 0xfffd
	v_cndmask_b32_e64 v24, 0, 1, vcc_lo
	v_cmp_ne_u32_e32 vcc_lo, v26, v38
	v_lshl_or_b32 v12, v12, 9, 0x7c00
	v_lshrrev_b32_e32 v9, 16, v9
	v_lshrrev_b32_e32 v13, 16, v13
	v_or_b32_e32 v24, v44, v24
	s_wait_alu 0xfffd
	v_cndmask_b32_e64 v26, 0, 1, vcc_lo
	v_cmp_gt_i32_e32 vcc_lo, 1, v17
	s_delay_alu instid0(VALU_DEP_2) | instskip(SKIP_3) | instid1(VALU_DEP_2)
	v_or_b32_e32 v26, v45, v26
	s_wait_alu 0xfffd
	v_cndmask_b32_e32 v16, v29, v16, vcc_lo
	v_cmp_gt_i32_e32 vcc_lo, 1, v19
	v_and_b32_e32 v28, 7, v16
	s_wait_alu 0xfffd
	v_cndmask_b32_e32 v18, v31, v18, vcc_lo
	v_cmp_gt_i32_e32 vcc_lo, 1, v21
	v_lshrrev_b32_e32 v16, 2, v16
	v_cmp_eq_u32_e64 s0, 3, v28
	s_wait_alu 0xfffd
	v_cndmask_b32_e32 v20, v33, v20, vcc_lo
	v_cmp_gt_i32_e32 vcc_lo, 1, v23
	s_delay_alu instid0(VALU_DEP_2)
	v_and_b32_e32 v30, 7, v20
	s_wait_alu 0xfffd
	v_cndmask_b32_e32 v22, v35, v22, vcc_lo
	v_cmp_gt_i32_e32 vcc_lo, 1, v25
	v_lshrrev_b32_e32 v20, 2, v20
	v_cmp_lt_i32_e64 s3, 5, v30
	v_cmp_eq_u32_e64 s4, 3, v30
	s_wait_alu 0xfffd
	v_cndmask_b32_e32 v24, v37, v24, vcc_lo
	v_cmp_gt_i32_e32 vcc_lo, 1, v27
	s_delay_alu instid0(VALU_DEP_2)
	v_and_b32_e32 v32, 7, v24
	s_wait_alu 0xfffd
	v_cndmask_b32_e32 v26, v39, v26, vcc_lo
	v_cmp_lt_i32_e32 vcc_lo, 5, v28
	v_lshrrev_b32_e32 v24, 2, v24
	v_cmp_lt_i32_e64 s7, 5, v32
	v_cmp_eq_u32_e64 s8, 3, v32
	s_or_b32 vcc_lo, s0, vcc_lo
	s_wait_alu 0xfffe
	v_add_co_ci_u32_e32 v16, vcc_lo, 0, v16, vcc_lo
	v_and_b32_e32 v29, 7, v18
	v_lshrrev_b32_e32 v18, 2, v18
	s_delay_alu instid0(VALU_DEP_2) | instskip(SKIP_1) | instid1(VALU_DEP_1)
	v_cmp_lt_i32_e64 s1, 5, v29
	v_cmp_eq_u32_e64 s2, 3, v29
	s_or_b32 vcc_lo, s2, s1
	s_wait_alu 0xfffe
	v_add_co_ci_u32_e32 v18, vcc_lo, 0, v18, vcc_lo
	s_or_b32 vcc_lo, s4, s3
	s_wait_alu 0xfffe
	v_add_co_ci_u32_e32 v20, vcc_lo, 0, v20, vcc_lo
	v_and_b32_e32 v31, 7, v22
	v_lshrrev_b32_e32 v22, 2, v22
	s_delay_alu instid0(VALU_DEP_2) | instskip(SKIP_1) | instid1(VALU_DEP_1)
	v_cmp_lt_i32_e64 s5, 5, v31
	v_cmp_eq_u32_e64 s6, 3, v31
	s_or_b32 vcc_lo, s6, s5
	s_wait_alu 0xfffe
	v_add_co_ci_u32_e32 v22, vcc_lo, 0, v22, vcc_lo
	s_or_b32 vcc_lo, s8, s7
	s_wait_alu 0xfffe
	v_add_co_ci_u32_e32 v24, vcc_lo, 0, v24, vcc_lo
	v_and_b32_e32 v33, 7, v26
	v_lshrrev_b32_e32 v26, 2, v26
	s_delay_alu instid0(VALU_DEP_2) | instskip(SKIP_1) | instid1(VALU_DEP_1)
	v_cmp_lt_i32_e64 s9, 5, v33
	v_cmp_eq_u32_e64 s10, 3, v33
	s_or_b32 vcc_lo, s10, s9
	s_wait_alu 0xfffe
	v_add_co_ci_u32_e32 v26, vcc_lo, 0, v26, vcc_lo
	v_cmp_gt_i32_e32 vcc_lo, 31, v17
	s_wait_alu 0xfffd
	v_cndmask_b32_e32 v16, 0x7c00, v16, vcc_lo
	v_cmp_gt_i32_e32 vcc_lo, 31, v19
	s_wait_alu 0xfffd
	v_cndmask_b32_e32 v18, 0x7c00, v18, vcc_lo
	v_cmp_gt_i32_e32 vcc_lo, 31, v21
	s_wait_alu 0xfffd
	v_cndmask_b32_e32 v20, 0x7c00, v20, vcc_lo
	v_cmp_gt_i32_e32 vcc_lo, 31, v23
	s_wait_alu 0xfffd
	v_cndmask_b32_e32 v22, 0x7c00, v22, vcc_lo
	v_cmp_gt_i32_e32 vcc_lo, 31, v25
	s_wait_alu 0xfffd
	v_cndmask_b32_e32 v24, 0x7c00, v24, vcc_lo
	v_cmp_gt_i32_e32 vcc_lo, 31, v27
	s_wait_alu 0xfffd
	v_cndmask_b32_e32 v26, 0x7c00, v26, vcc_lo
	v_cmp_eq_u32_e32 vcc_lo, 0x40f, v17
	s_wait_alu 0xfffd
	v_cndmask_b32_e32 v2, v16, v2, vcc_lo
	v_cmp_eq_u32_e32 vcc_lo, 0x40f, v19
	s_delay_alu instid0(VALU_DEP_2) | instskip(SKIP_3) | instid1(VALU_DEP_2)
	v_and_or_b32 v2, 0x8000, v3, v2
	s_wait_alu 0xfffd
	v_cndmask_b32_e32 v4, v18, v4, vcc_lo
	v_cmp_eq_u32_e32 vcc_lo, 0x40f, v21
	v_and_or_b32 v4, 0x8000, v5, v4
	s_wait_alu 0xfffd
	v_cndmask_b32_e32 v6, v20, v6, vcc_lo
	v_cmp_eq_u32_e32 vcc_lo, 0x40f, v23
	s_delay_alu instid0(VALU_DEP_2) | instskip(SKIP_3) | instid1(VALU_DEP_2)
	v_and_or_b32 v3, 0x8000, v7, v6
	s_wait_alu 0xfffd
	v_cndmask_b32_e32 v8, v22, v8, vcc_lo
	v_cmp_eq_u32_e32 vcc_lo, 0x40f, v25
	v_and_or_b32 v6, 0x8000, v9, v8
	s_wait_alu 0xfffd
	v_cndmask_b32_e32 v10, v24, v10, vcc_lo
	v_cmp_eq_u32_e32 vcc_lo, 0x40f, v27
	v_and_b32_e32 v8, 0xffff, v2
	v_and_b32_e32 v9, 0xffff, v3
	s_delay_alu instid0(VALU_DEP_4)
	v_and_or_b32 v5, 0x8000, v11, v10
	s_wait_alu 0xfffd
	v_cndmask_b32_e32 v12, v26, v12, vcc_lo
	v_add_co_u32 v2, vcc_lo, v14, s12
	v_lshl_or_b32 v4, v4, 16, v8
	v_and_b32_e32 v5, 0xffff, v5
	s_delay_alu instid0(VALU_DEP_4) | instskip(SKIP_3) | instid1(VALU_DEP_3)
	v_and_or_b32 v7, 0x8000, v13, v12
	v_lshl_or_b32 v6, v6, 16, v9
	s_wait_alu 0xfffd
	v_add_co_ci_u32_e32 v3, vcc_lo, s13, v15, vcc_lo
	v_lshl_or_b32 v5, v7, 16, v5
	global_store_b32 v[0:1], v4, off
	global_store_b32 v[14:15], v6, off
	global_store_b32 v[2:3], v5, off
.LBB0_31:
	s_nop 0
	s_sendmsg sendmsg(MSG_DEALLOC_VGPRS)
	s_endpgm
	.section	.rodata,"a",@progbits
	.p2align	6, 0x0
	.amdhsa_kernel bluestein_single_back_len1323_dim1_half_op_CI_CI
		.amdhsa_group_segment_fixed_size 5292
		.amdhsa_private_segment_fixed_size 0
		.amdhsa_kernarg_size 104
		.amdhsa_user_sgpr_count 2
		.amdhsa_user_sgpr_dispatch_ptr 0
		.amdhsa_user_sgpr_queue_ptr 0
		.amdhsa_user_sgpr_kernarg_segment_ptr 1
		.amdhsa_user_sgpr_dispatch_id 0
		.amdhsa_user_sgpr_private_segment_size 0
		.amdhsa_wavefront_size32 1
		.amdhsa_uses_dynamic_stack 0
		.amdhsa_enable_private_segment 0
		.amdhsa_system_sgpr_workgroup_id_x 1
		.amdhsa_system_sgpr_workgroup_id_y 0
		.amdhsa_system_sgpr_workgroup_id_z 0
		.amdhsa_system_sgpr_workgroup_info 0
		.amdhsa_system_vgpr_workitem_id 0
		.amdhsa_next_free_vgpr 107
		.amdhsa_next_free_sgpr 18
		.amdhsa_reserve_vcc 1
		.amdhsa_float_round_mode_32 0
		.amdhsa_float_round_mode_16_64 0
		.amdhsa_float_denorm_mode_32 3
		.amdhsa_float_denorm_mode_16_64 3
		.amdhsa_fp16_overflow 0
		.amdhsa_workgroup_processor_mode 1
		.amdhsa_memory_ordered 1
		.amdhsa_forward_progress 0
		.amdhsa_round_robin_scheduling 0
		.amdhsa_exception_fp_ieee_invalid_op 0
		.amdhsa_exception_fp_denorm_src 0
		.amdhsa_exception_fp_ieee_div_zero 0
		.amdhsa_exception_fp_ieee_overflow 0
		.amdhsa_exception_fp_ieee_underflow 0
		.amdhsa_exception_fp_ieee_inexact 0
		.amdhsa_exception_int_div_zero 0
	.end_amdhsa_kernel
	.text
.Lfunc_end0:
	.size	bluestein_single_back_len1323_dim1_half_op_CI_CI, .Lfunc_end0-bluestein_single_back_len1323_dim1_half_op_CI_CI
                                        ; -- End function
	.section	.AMDGPU.csdata,"",@progbits
; Kernel info:
; codeLenInByte = 16228
; NumSgprs: 20
; NumVgprs: 107
; ScratchSize: 0
; MemoryBound: 0
; FloatMode: 240
; IeeeMode: 1
; LDSByteSize: 5292 bytes/workgroup (compile time only)
; SGPRBlocks: 2
; VGPRBlocks: 13
; NumSGPRsForWavesPerEU: 20
; NumVGPRsForWavesPerEU: 107
; Occupancy: 12
; WaveLimiterHint : 1
; COMPUTE_PGM_RSRC2:SCRATCH_EN: 0
; COMPUTE_PGM_RSRC2:USER_SGPR: 2
; COMPUTE_PGM_RSRC2:TRAP_HANDLER: 0
; COMPUTE_PGM_RSRC2:TGID_X_EN: 1
; COMPUTE_PGM_RSRC2:TGID_Y_EN: 0
; COMPUTE_PGM_RSRC2:TGID_Z_EN: 0
; COMPUTE_PGM_RSRC2:TIDIG_COMP_CNT: 0
	.text
	.p2alignl 7, 3214868480
	.fill 96, 4, 3214868480
	.type	__hip_cuid_7e5062edd7e32aca,@object ; @__hip_cuid_7e5062edd7e32aca
	.section	.bss,"aw",@nobits
	.globl	__hip_cuid_7e5062edd7e32aca
__hip_cuid_7e5062edd7e32aca:
	.byte	0                               ; 0x0
	.size	__hip_cuid_7e5062edd7e32aca, 1

	.ident	"AMD clang version 19.0.0git (https://github.com/RadeonOpenCompute/llvm-project roc-6.4.0 25133 c7fe45cf4b819c5991fe208aaa96edf142730f1d)"
	.section	".note.GNU-stack","",@progbits
	.addrsig
	.addrsig_sym __hip_cuid_7e5062edd7e32aca
	.amdgpu_metadata
---
amdhsa.kernels:
  - .args:
      - .actual_access:  read_only
        .address_space:  global
        .offset:         0
        .size:           8
        .value_kind:     global_buffer
      - .actual_access:  read_only
        .address_space:  global
        .offset:         8
        .size:           8
        .value_kind:     global_buffer
      - .actual_access:  read_only
        .address_space:  global
        .offset:         16
        .size:           8
        .value_kind:     global_buffer
      - .actual_access:  read_only
        .address_space:  global
        .offset:         24
        .size:           8
        .value_kind:     global_buffer
      - .actual_access:  read_only
        .address_space:  global
        .offset:         32
        .size:           8
        .value_kind:     global_buffer
      - .offset:         40
        .size:           8
        .value_kind:     by_value
      - .address_space:  global
        .offset:         48
        .size:           8
        .value_kind:     global_buffer
      - .address_space:  global
        .offset:         56
        .size:           8
        .value_kind:     global_buffer
      - .address_space:  global
        .offset:         64
        .size:           8
        .value_kind:     global_buffer
      - .address_space:  global
        .offset:         72
        .size:           8
        .value_kind:     global_buffer
      - .offset:         80
        .size:           4
        .value_kind:     by_value
      - .address_space:  global
        .offset:         88
        .size:           8
        .value_kind:     global_buffer
      - .address_space:  global
        .offset:         96
        .size:           8
        .value_kind:     global_buffer
    .group_segment_fixed_size: 5292
    .kernarg_segment_align: 8
    .kernarg_segment_size: 104
    .language:       OpenCL C
    .language_version:
      - 2
      - 0
    .max_flat_workgroup_size: 189
    .name:           bluestein_single_back_len1323_dim1_half_op_CI_CI
    .private_segment_fixed_size: 0
    .sgpr_count:     20
    .sgpr_spill_count: 0
    .symbol:         bluestein_single_back_len1323_dim1_half_op_CI_CI.kd
    .uniform_work_group_size: 1
    .uses_dynamic_stack: false
    .vgpr_count:     107
    .vgpr_spill_count: 0
    .wavefront_size: 32
    .workgroup_processor_mode: 1
amdhsa.target:   amdgcn-amd-amdhsa--gfx1201
amdhsa.version:
  - 1
  - 2
...

	.end_amdgpu_metadata
